;; amdgpu-corpus repo=ROCm/rocSOLVER kind=compiled arch=gfx950 opt=O3
	.amdgcn_target "amdgcn-amd-amdhsa--gfx950"
	.amdhsa_code_object_version 6
	.section	.text._ZN9rocsolver6v33100L10reset_infoIiiiEEvPT_T0_T1_S4_,"axG",@progbits,_ZN9rocsolver6v33100L10reset_infoIiiiEEvPT_T0_T1_S4_,comdat
	.globl	_ZN9rocsolver6v33100L10reset_infoIiiiEEvPT_T0_T1_S4_ ; -- Begin function _ZN9rocsolver6v33100L10reset_infoIiiiEEvPT_T0_T1_S4_
	.p2align	8
	.type	_ZN9rocsolver6v33100L10reset_infoIiiiEEvPT_T0_T1_S4_,@function
_ZN9rocsolver6v33100L10reset_infoIiiiEEvPT_T0_T1_S4_: ; @_ZN9rocsolver6v33100L10reset_infoIiiiEEvPT_T0_T1_S4_
; %bb.0:
	s_load_dword s3, s[0:1], 0x24
	s_load_dwordx4 s[4:7], s[0:1], 0x8
	s_waitcnt lgkmcnt(0)
	s_and_b32 s3, s3, 0xffff
	s_mul_i32 s2, s2, s3
	v_add_u32_e32 v0, s2, v0
	v_cmp_gt_i32_e32 vcc, s4, v0
	s_and_saveexec_b64 s[2:3], vcc
	s_cbranch_execz .LBB0_2
; %bb.1:
	s_load_dwordx2 s[0:1], s[0:1], 0x0
	v_ashrrev_i32_e32 v1, 31, v0
	v_mul_lo_u32 v2, v0, s6
	v_add_u32_e32 v2, s5, v2
	s_waitcnt lgkmcnt(0)
	v_lshl_add_u64 v[0:1], v[0:1], 2, s[0:1]
	global_store_dword v[0:1], v2, off
.LBB0_2:
	s_endpgm
	.section	.rodata,"a",@progbits
	.p2align	6, 0x0
	.amdhsa_kernel _ZN9rocsolver6v33100L10reset_infoIiiiEEvPT_T0_T1_S4_
		.amdhsa_group_segment_fixed_size 0
		.amdhsa_private_segment_fixed_size 0
		.amdhsa_kernarg_size 280
		.amdhsa_user_sgpr_count 2
		.amdhsa_user_sgpr_dispatch_ptr 0
		.amdhsa_user_sgpr_queue_ptr 0
		.amdhsa_user_sgpr_kernarg_segment_ptr 1
		.amdhsa_user_sgpr_dispatch_id 0
		.amdhsa_user_sgpr_kernarg_preload_length 0
		.amdhsa_user_sgpr_kernarg_preload_offset 0
		.amdhsa_user_sgpr_private_segment_size 0
		.amdhsa_uses_dynamic_stack 0
		.amdhsa_enable_private_segment 0
		.amdhsa_system_sgpr_workgroup_id_x 1
		.amdhsa_system_sgpr_workgroup_id_y 0
		.amdhsa_system_sgpr_workgroup_id_z 0
		.amdhsa_system_sgpr_workgroup_info 0
		.amdhsa_system_vgpr_workitem_id 0
		.amdhsa_next_free_vgpr 3
		.amdhsa_next_free_sgpr 8
		.amdhsa_accum_offset 4
		.amdhsa_reserve_vcc 1
		.amdhsa_float_round_mode_32 0
		.amdhsa_float_round_mode_16_64 0
		.amdhsa_float_denorm_mode_32 3
		.amdhsa_float_denorm_mode_16_64 3
		.amdhsa_dx10_clamp 1
		.amdhsa_ieee_mode 1
		.amdhsa_fp16_overflow 0
		.amdhsa_tg_split 0
		.amdhsa_exception_fp_ieee_invalid_op 0
		.amdhsa_exception_fp_denorm_src 0
		.amdhsa_exception_fp_ieee_div_zero 0
		.amdhsa_exception_fp_ieee_overflow 0
		.amdhsa_exception_fp_ieee_underflow 0
		.amdhsa_exception_fp_ieee_inexact 0
		.amdhsa_exception_int_div_zero 0
	.end_amdhsa_kernel
	.section	.text._ZN9rocsolver6v33100L10reset_infoIiiiEEvPT_T0_T1_S4_,"axG",@progbits,_ZN9rocsolver6v33100L10reset_infoIiiiEEvPT_T0_T1_S4_,comdat
.Lfunc_end0:
	.size	_ZN9rocsolver6v33100L10reset_infoIiiiEEvPT_T0_T1_S4_, .Lfunc_end0-_ZN9rocsolver6v33100L10reset_infoIiiiEEvPT_T0_T1_S4_
                                        ; -- End function
	.set _ZN9rocsolver6v33100L10reset_infoIiiiEEvPT_T0_T1_S4_.num_vgpr, 3
	.set _ZN9rocsolver6v33100L10reset_infoIiiiEEvPT_T0_T1_S4_.num_agpr, 0
	.set _ZN9rocsolver6v33100L10reset_infoIiiiEEvPT_T0_T1_S4_.numbered_sgpr, 8
	.set _ZN9rocsolver6v33100L10reset_infoIiiiEEvPT_T0_T1_S4_.num_named_barrier, 0
	.set _ZN9rocsolver6v33100L10reset_infoIiiiEEvPT_T0_T1_S4_.private_seg_size, 0
	.set _ZN9rocsolver6v33100L10reset_infoIiiiEEvPT_T0_T1_S4_.uses_vcc, 1
	.set _ZN9rocsolver6v33100L10reset_infoIiiiEEvPT_T0_T1_S4_.uses_flat_scratch, 0
	.set _ZN9rocsolver6v33100L10reset_infoIiiiEEvPT_T0_T1_S4_.has_dyn_sized_stack, 0
	.set _ZN9rocsolver6v33100L10reset_infoIiiiEEvPT_T0_T1_S4_.has_recursion, 0
	.set _ZN9rocsolver6v33100L10reset_infoIiiiEEvPT_T0_T1_S4_.has_indirect_call, 0
	.section	.AMDGPU.csdata,"",@progbits
; Kernel info:
; codeLenInByte = 96
; TotalNumSgprs: 14
; NumVgprs: 3
; NumAgprs: 0
; TotalNumVgprs: 3
; ScratchSize: 0
; MemoryBound: 0
; FloatMode: 240
; IeeeMode: 1
; LDSByteSize: 0 bytes/workgroup (compile time only)
; SGPRBlocks: 1
; VGPRBlocks: 0
; NumSGPRsForWavesPerEU: 14
; NumVGPRsForWavesPerEU: 3
; AccumOffset: 4
; Occupancy: 8
; WaveLimiterHint : 0
; COMPUTE_PGM_RSRC2:SCRATCH_EN: 0
; COMPUTE_PGM_RSRC2:USER_SGPR: 2
; COMPUTE_PGM_RSRC2:TRAP_HANDLER: 0
; COMPUTE_PGM_RSRC2:TGID_X_EN: 1
; COMPUTE_PGM_RSRC2:TGID_Y_EN: 0
; COMPUTE_PGM_RSRC2:TGID_Z_EN: 0
; COMPUTE_PGM_RSRC2:TIDIG_COMP_CNT: 0
; COMPUTE_PGM_RSRC3_GFX90A:ACCUM_OFFSET: 0
; COMPUTE_PGM_RSRC3_GFX90A:TG_SPLIT: 0
	.section	.text._ZN9rocsolver6v33100L18stebz_case1_kernelIfPfEEv15rocblas_erange_T_S4_T0_ilPiS6_PS4_lS6_lS6_li,"axG",@progbits,_ZN9rocsolver6v33100L18stebz_case1_kernelIfPfEEv15rocblas_erange_T_S4_T0_ilPiS6_PS4_lS6_lS6_li,comdat
	.globl	_ZN9rocsolver6v33100L18stebz_case1_kernelIfPfEEv15rocblas_erange_T_S4_T0_ilPiS6_PS4_lS6_lS6_li ; -- Begin function _ZN9rocsolver6v33100L18stebz_case1_kernelIfPfEEv15rocblas_erange_T_S4_T0_ilPiS6_PS4_lS6_lS6_li
	.p2align	8
	.type	_ZN9rocsolver6v33100L18stebz_case1_kernelIfPfEEv15rocblas_erange_T_S4_T0_ilPiS6_PS4_lS6_lS6_li,@function
_ZN9rocsolver6v33100L18stebz_case1_kernelIfPfEEv15rocblas_erange_T_S4_T0_ilPiS6_PS4_lS6_lS6_li: ; @_ZN9rocsolver6v33100L18stebz_case1_kernelIfPfEEv15rocblas_erange_T_S4_T0_ilPiS6_PS4_lS6_lS6_li
; %bb.0:
	s_load_dword s3, s[0:1], 0x7c
	s_load_dword s4, s[0:1], 0x68
	s_waitcnt lgkmcnt(0)
	s_and_b32 s3, s3, 0xffff
	s_mul_i32 s2, s2, s3
	v_add_u32_e32 v0, s2, v0
	v_cmp_gt_i32_e32 vcc, s4, v0
	s_and_saveexec_b64 s[2:3], vcc
	s_cbranch_execz .LBB1_7
; %bb.1:
	s_load_dword s2, s[0:1], 0x18
	s_load_dwordx16 s[4:19], s[0:1], 0x20
	s_load_dwordx2 s[20:21], s[0:1], 0x10
	v_ashrrev_i32_e32 v1, 31, v0
	s_waitcnt lgkmcnt(0)
	s_ashr_i32 s3, s2, 31
	v_mul_lo_u32 v4, s5, v0
	v_mul_lo_u32 v5, s4, v1
	v_mad_u64_u32 v[2:3], s[4:5], s4, v0, 0
	v_add3_u32 v3, v3, v5, v4
	v_lshl_add_u64 v[2:3], v[2:3], 2, s[20:21]
	v_lshl_add_u64 v[2:3], s[2:3], 2, v[2:3]
	global_load_dword v4, v[2:3], off
	s_load_dwordx4 s[20:23], s[0:1], 0x0
	s_load_dwordx2 s[2:3], s[0:1], 0x60
	v_mov_b32_e32 v2, s8
	v_mov_b32_e32 v3, s9
	;; [unrolled: 1-line block ×3, first 2 shown]
	s_waitcnt lgkmcnt(0)
	s_cmpk_lg_i32 s20, 0xe8
	v_mul_lo_u32 v5, s3, v0
	v_mul_lo_u32 v10, s2, v1
	v_mad_u64_u32 v[8:9], s[0:1], s2, v0, 0
	s_cselect_b64 s[2:3], -1, 0
	v_mov_b32_e32 v7, s19
	v_add3_u32 v9, v9, v10, v5
	v_lshl_add_u64 v[2:3], v[0:1], 2, v[2:3]
	v_mov_b32_e32 v5, 1
	s_and_b64 vcc, exec, s[2:3]
	v_lshl_add_u64 v[6:7], v[8:9], 2, v[6:7]
	global_store_dword v[2:3], v5, off
	global_store_dword v[6:7], v5, off
	s_cbranch_vccnz .LBB1_3
; %bb.2:
	s_waitcnt vmcnt(2)
	v_cmp_nge_f32_e32 vcc, s21, v4
	v_cmp_nlt_f32_e64 s[0:1], s22, v4
	s_and_b64 s[4:5], vcc, s[0:1]
	s_andn2_b64 s[2:3], s[2:3], exec
	s_and_b64 s[4:5], s[4:5], exec
	s_mov_b64 s[0:1], -1
	s_or_b64 s[2:3], s[2:3], s[4:5]
	v_lshl_add_u64 v[2:3], v[0:1], 2, s[6:7]
	s_and_saveexec_b64 s[4:5], s[2:3]
	s_xor_b64 s[2:3], exec, s[4:5]
	s_cbranch_execnz .LBB1_4
	s_branch .LBB1_5
.LBB1_3:
	s_mov_b64 s[0:1], 0
	v_lshl_add_u64 v[2:3], v[0:1], 2, s[6:7]
	s_and_saveexec_b64 s[4:5], s[2:3]
	s_xor_b64 s[2:3], exec, s[4:5]
	s_cbranch_execz .LBB1_5
.LBB1_4:
	v_mul_lo_u32 v5, s13, v0
	v_mul_lo_u32 v12, s12, v1
	v_mad_u64_u32 v[10:11], s[4:5], s12, v0, 0
	v_mov_b32_e32 v6, s10
	v_mov_b32_e32 v7, s11
	v_add3_u32 v11, v11, v12, v5
	v_lshl_add_u64 v[6:7], v[10:11], 2, v[6:7]
	v_mul_lo_u32 v5, s17, v0
	v_mul_lo_u32 v10, s16, v1
	v_mad_u64_u32 v[0:1], s[4:5], s16, v0, 0
	v_mov_b32_e32 v8, s14
	v_mov_b32_e32 v9, s15
	v_add3_u32 v1, v1, v10, v5
	v_mov_b32_e32 v5, 1
	v_lshl_add_u64 v[0:1], v[0:1], 2, v[8:9]
	global_store_dword v[2:3], v5, off
	s_waitcnt vmcnt(3)
	global_store_dword v[6:7], v4, off
	global_store_dword v[0:1], v5, off
	s_andn2_b64 s[0:1], s[0:1], exec
.LBB1_5:
	s_or_b64 exec, exec, s[2:3]
	s_and_b64 exec, exec, s[0:1]
	s_cbranch_execz .LBB1_7
; %bb.6:
	v_mov_b32_e32 v0, 0
	global_store_dword v[2:3], v0, off
.LBB1_7:
	s_endpgm
	.section	.rodata,"a",@progbits
	.p2align	6, 0x0
	.amdhsa_kernel _ZN9rocsolver6v33100L18stebz_case1_kernelIfPfEEv15rocblas_erange_T_S4_T0_ilPiS6_PS4_lS6_lS6_li
		.amdhsa_group_segment_fixed_size 0
		.amdhsa_private_segment_fixed_size 0
		.amdhsa_kernarg_size 368
		.amdhsa_user_sgpr_count 2
		.amdhsa_user_sgpr_dispatch_ptr 0
		.amdhsa_user_sgpr_queue_ptr 0
		.amdhsa_user_sgpr_kernarg_segment_ptr 1
		.amdhsa_user_sgpr_dispatch_id 0
		.amdhsa_user_sgpr_kernarg_preload_length 0
		.amdhsa_user_sgpr_kernarg_preload_offset 0
		.amdhsa_user_sgpr_private_segment_size 0
		.amdhsa_uses_dynamic_stack 0
		.amdhsa_enable_private_segment 0
		.amdhsa_system_sgpr_workgroup_id_x 1
		.amdhsa_system_sgpr_workgroup_id_y 0
		.amdhsa_system_sgpr_workgroup_id_z 0
		.amdhsa_system_sgpr_workgroup_info 0
		.amdhsa_system_vgpr_workitem_id 0
		.amdhsa_next_free_vgpr 13
		.amdhsa_next_free_sgpr 24
		.amdhsa_accum_offset 16
		.amdhsa_reserve_vcc 1
		.amdhsa_float_round_mode_32 0
		.amdhsa_float_round_mode_16_64 0
		.amdhsa_float_denorm_mode_32 3
		.amdhsa_float_denorm_mode_16_64 3
		.amdhsa_dx10_clamp 1
		.amdhsa_ieee_mode 1
		.amdhsa_fp16_overflow 0
		.amdhsa_tg_split 0
		.amdhsa_exception_fp_ieee_invalid_op 0
		.amdhsa_exception_fp_denorm_src 0
		.amdhsa_exception_fp_ieee_div_zero 0
		.amdhsa_exception_fp_ieee_overflow 0
		.amdhsa_exception_fp_ieee_underflow 0
		.amdhsa_exception_fp_ieee_inexact 0
		.amdhsa_exception_int_div_zero 0
	.end_amdhsa_kernel
	.section	.text._ZN9rocsolver6v33100L18stebz_case1_kernelIfPfEEv15rocblas_erange_T_S4_T0_ilPiS6_PS4_lS6_lS6_li,"axG",@progbits,_ZN9rocsolver6v33100L18stebz_case1_kernelIfPfEEv15rocblas_erange_T_S4_T0_ilPiS6_PS4_lS6_lS6_li,comdat
.Lfunc_end1:
	.size	_ZN9rocsolver6v33100L18stebz_case1_kernelIfPfEEv15rocblas_erange_T_S4_T0_ilPiS6_PS4_lS6_lS6_li, .Lfunc_end1-_ZN9rocsolver6v33100L18stebz_case1_kernelIfPfEEv15rocblas_erange_T_S4_T0_ilPiS6_PS4_lS6_lS6_li
                                        ; -- End function
	.set _ZN9rocsolver6v33100L18stebz_case1_kernelIfPfEEv15rocblas_erange_T_S4_T0_ilPiS6_PS4_lS6_lS6_li.num_vgpr, 13
	.set _ZN9rocsolver6v33100L18stebz_case1_kernelIfPfEEv15rocblas_erange_T_S4_T0_ilPiS6_PS4_lS6_lS6_li.num_agpr, 0
	.set _ZN9rocsolver6v33100L18stebz_case1_kernelIfPfEEv15rocblas_erange_T_S4_T0_ilPiS6_PS4_lS6_lS6_li.numbered_sgpr, 24
	.set _ZN9rocsolver6v33100L18stebz_case1_kernelIfPfEEv15rocblas_erange_T_S4_T0_ilPiS6_PS4_lS6_lS6_li.num_named_barrier, 0
	.set _ZN9rocsolver6v33100L18stebz_case1_kernelIfPfEEv15rocblas_erange_T_S4_T0_ilPiS6_PS4_lS6_lS6_li.private_seg_size, 0
	.set _ZN9rocsolver6v33100L18stebz_case1_kernelIfPfEEv15rocblas_erange_T_S4_T0_ilPiS6_PS4_lS6_lS6_li.uses_vcc, 1
	.set _ZN9rocsolver6v33100L18stebz_case1_kernelIfPfEEv15rocblas_erange_T_S4_T0_ilPiS6_PS4_lS6_lS6_li.uses_flat_scratch, 0
	.set _ZN9rocsolver6v33100L18stebz_case1_kernelIfPfEEv15rocblas_erange_T_S4_T0_ilPiS6_PS4_lS6_lS6_li.has_dyn_sized_stack, 0
	.set _ZN9rocsolver6v33100L18stebz_case1_kernelIfPfEEv15rocblas_erange_T_S4_T0_ilPiS6_PS4_lS6_lS6_li.has_recursion, 0
	.set _ZN9rocsolver6v33100L18stebz_case1_kernelIfPfEEv15rocblas_erange_T_S4_T0_ilPiS6_PS4_lS6_lS6_li.has_indirect_call, 0
	.section	.AMDGPU.csdata,"",@progbits
; Kernel info:
; codeLenInByte = 504
; TotalNumSgprs: 30
; NumVgprs: 13
; NumAgprs: 0
; TotalNumVgprs: 13
; ScratchSize: 0
; MemoryBound: 0
; FloatMode: 240
; IeeeMode: 1
; LDSByteSize: 0 bytes/workgroup (compile time only)
; SGPRBlocks: 3
; VGPRBlocks: 1
; NumSGPRsForWavesPerEU: 30
; NumVGPRsForWavesPerEU: 13
; AccumOffset: 16
; Occupancy: 8
; WaveLimiterHint : 0
; COMPUTE_PGM_RSRC2:SCRATCH_EN: 0
; COMPUTE_PGM_RSRC2:USER_SGPR: 2
; COMPUTE_PGM_RSRC2:TRAP_HANDLER: 0
; COMPUTE_PGM_RSRC2:TGID_X_EN: 1
; COMPUTE_PGM_RSRC2:TGID_Y_EN: 0
; COMPUTE_PGM_RSRC2:TGID_Z_EN: 0
; COMPUTE_PGM_RSRC2:TIDIG_COMP_CNT: 0
; COMPUTE_PGM_RSRC3_GFX90A:ACCUM_OFFSET: 3
; COMPUTE_PGM_RSRC3_GFX90A:TG_SPLIT: 0
	.section	.text._ZN9rocsolver6v33100L22stebz_splitting_kernelIfPfEEv15rocblas_erange_iT_S4_iiT0_iiS5_iiPiPS4_lS6_lS6_S7_S7_S7_S7_S6_S4_S4_,"axG",@progbits,_ZN9rocsolver6v33100L22stebz_splitting_kernelIfPfEEv15rocblas_erange_iT_S4_iiT0_iiS5_iiPiPS4_lS6_lS6_S7_S7_S7_S7_S6_S4_S4_,comdat
	.globl	_ZN9rocsolver6v33100L22stebz_splitting_kernelIfPfEEv15rocblas_erange_iT_S4_iiT0_iiS5_iiPiPS4_lS6_lS6_S7_S7_S7_S7_S6_S4_S4_ ; -- Begin function _ZN9rocsolver6v33100L22stebz_splitting_kernelIfPfEEv15rocblas_erange_iT_S4_iiT0_iiS5_iiPiPS4_lS6_lS6_S7_S7_S7_S7_S6_S4_S4_
	.p2align	8
	.type	_ZN9rocsolver6v33100L22stebz_splitting_kernelIfPfEEv15rocblas_erange_iT_S4_iiT0_iiS5_iiPiPS4_lS6_lS6_S7_S7_S7_S7_S6_S4_S4_,@function
_ZN9rocsolver6v33100L22stebz_splitting_kernelIfPfEEv15rocblas_erange_iT_S4_iiT0_iiS5_iiPiPS4_lS6_lS6_S7_S7_S7_S7_S6_S4_S4_: ; @_ZN9rocsolver6v33100L22stebz_splitting_kernelIfPfEEv15rocblas_erange_iT_S4_iiT0_iiS5_iiPiPS4_lS6_lS6_S7_S7_S7_S7_S6_S4_S4_
; %bb.0:
	s_load_dwordx4 s[24:27], s[0:1], 0x0
	s_load_dwordx2 s[36:37], s[0:1], 0x10
	s_mov_b32 s34, s3
	v_mov_b32_e32 v4, 0
	v_lshlrev_b32_e32 v2, 2, v0
	s_waitcnt lgkmcnt(0)
	s_add_i32 s33, s25, -1
	s_ashr_i32 s2, s33, 31
	s_lshr_b32 s2, s2, 24
	s_add_i32 s2, s33, s2
	s_ashr_i32 s3, s2, 8
	s_and_b32 s2, s2, 0xffffff00
	s_sub_i32 s2, s33, s2
	v_mov_b32_e32 v1, s3
	v_cmp_gt_i32_e32 vcc, s2, v0
	v_cmp_eq_u32_e64 s[2:3], 0, v0
	v_mov_b32_e32 v8, 0
	v_addc_co_u32_e32 v1, vcc, 0, v1, vcc
	v_cmp_ne_u32_e32 vcc, 0, v0
	ds_write_b32 v2, v1
	s_waitcnt lgkmcnt(0)
	s_barrier
	s_and_saveexec_b64 s[6:7], vcc
	s_cbranch_execz .LBB2_16
; %bb.1:
	v_cmp_lt_u32_e64 s[4:5], 3, v0
	s_mov_b64 s[10:11], -1
	v_mov_b32_e32 v8, 0
	v_mov_b32_e32 v3, 0
	s_and_saveexec_b64 s[8:9], s[4:5]
	s_cbranch_execz .LBB2_11
; %bb.2:
	v_add_u32_e32 v5, -4, v0
	v_mov_b32_e32 v8, 0
	v_lshrrev_b32_e32 v3, 2, v5
	v_mov_b32_e32 v9, v8
	v_add_u32_e32 v3, 1, v3
	v_cmp_lt_u32_e64 s[4:5], 27, v5
	s_mov_b32 s14, 0
	v_mov_b64_e32 v[6:7], v[8:9]
	v_mov_b32_e32 v10, v8
	s_and_saveexec_b64 s[10:11], s[4:5]
	s_cbranch_execz .LBB2_6
; %bb.3:
	v_and_b32_e32 v5, 0x7ffffff8, v3
	s_mov_b32 s15, 0
	s_mov_b64 s[12:13], 0
	v_mov_b32_e32 v6, 0
	v_mov_b32_e32 v7, 0
	;; [unrolled: 1-line block ×4, first 2 shown]
.LBB2_4:                                ; =>This Inner Loop Header: Depth=1
	v_mov_b32_e32 v10, s14
	ds_read_b128 v[12:15], v10
	ds_read_b128 v[16:19], v10 offset:16
	ds_read_b128 v[20:23], v10 offset:32
	;; [unrolled: 1-line block ×7, first 2 shown]
	s_waitcnt lgkmcnt(7)
	v_add_u32_e32 v6, v12, v6
	v_add_u32_e32 v7, v13, v7
	v_add_u32_e32 v8, v14, v8
	v_add_u32_e32 v9, v15, v9
	s_waitcnt lgkmcnt(6)
	v_add_u32_e32 v7, v17, v7
	v_add_u32_e32 v6, v16, v6
	v_add_u32_e32 v9, v19, v9
	v_add_u32_e32 v8, v18, v8
	s_waitcnt lgkmcnt(5)
	v_add_u32_e32 v6, v20, v6
	v_add_u32_e32 v7, v21, v7
	v_add_u32_e32 v8, v22, v8
	v_add_u32_e32 v9, v23, v9
	s_waitcnt lgkmcnt(4)
	v_add_u32_e32 v7, v25, v7
	v_add_u32_e32 v6, v24, v6
	v_add_u32_e32 v9, v27, v9
	v_add_u32_e32 v8, v26, v8
	s_waitcnt lgkmcnt(3)
	v_add_u32_e32 v6, v28, v6
	v_add_u32_e32 v7, v29, v7
	v_add_u32_e32 v8, v30, v8
	v_add_u32_e32 v9, v31, v9
	v_add_u32_e32 v5, -8, v5
	s_waitcnt lgkmcnt(2)
	v_add_u32_e32 v7, v33, v7
	v_add_u32_e32 v6, v32, v6
	;; [unrolled: 1-line block ×4, first 2 shown]
	s_add_i32 s15, s15, 32
	s_addk_i32 s14, 0x80
	v_cmp_eq_u32_e64 s[4:5], 0, v5
	s_waitcnt lgkmcnt(1)
	v_add_u32_e32 v6, v36, v6
	v_add_u32_e32 v7, v37, v7
	;; [unrolled: 1-line block ×4, first 2 shown]
	v_mov_b32_e32 v10, s15
	s_or_b64 s[12:13], s[4:5], s[12:13]
	s_waitcnt lgkmcnt(0)
	v_add_u32_e32 v7, v41, v7
	v_add_u32_e32 v6, v40, v6
	;; [unrolled: 1-line block ×4, first 2 shown]
	s_andn2_b64 exec, exec, s[12:13]
	s_cbranch_execnz .LBB2_4
; %bb.5:
	s_or_b64 exec, exec, s[12:13]
.LBB2_6:
	s_or_b64 exec, exec, s[10:11]
	v_and_b32_e32 v3, 7, v3
	v_cmp_ne_u32_e64 s[4:5], 0, v3
	s_and_saveexec_b64 s[10:11], s[4:5]
	s_cbranch_execz .LBB2_10
; %bb.7:
	v_lshlrev_b32_e32 v5, 2, v10
	s_mov_b64 s[12:13], 0
.LBB2_8:                                ; =>This Inner Loop Header: Depth=1
	ds_read_b128 v[10:13], v5
	v_add_u32_e32 v3, -1, v3
	v_cmp_eq_u32_e64 s[4:5], 0, v3
	v_add_u32_e32 v5, 16, v5
	s_or_b64 s[12:13], s[4:5], s[12:13]
	s_waitcnt lgkmcnt(0)
	v_add_u32_e32 v7, v11, v7
	v_add_u32_e32 v6, v10, v6
	;; [unrolled: 1-line block ×4, first 2 shown]
	s_andn2_b64 exec, exec, s[12:13]
	s_cbranch_execnz .LBB2_8
; %bb.9:
	s_or_b64 exec, exec, s[12:13]
.LBB2_10:
	s_or_b64 exec, exec, s[10:11]
	v_and_b32_e32 v3, 0xfc, v0
	v_add_u32_e32 v5, v9, v7
	v_cmp_ne_u32_e64 s[4:5], v0, v3
	v_add3_u32 v8, v8, v6, v5
	s_orn2_b64 s[10:11], s[4:5], exec
.LBB2_11:
	s_or_b64 exec, exec, s[8:9]
	s_and_saveexec_b64 s[8:9], s[10:11]
	s_cbranch_execz .LBB2_15
; %bb.12:
	v_sub_u32_e32 v5, v0, v3
	v_lshlrev_b32_e32 v3, 2, v3
	s_mov_b64 s[10:11], 0
.LBB2_13:                               ; =>This Inner Loop Header: Depth=1
	ds_read_b32 v6, v3
	v_add_u32_e32 v5, -1, v5
	v_cmp_eq_u32_e64 s[4:5], 0, v5
	v_add_u32_e32 v3, 4, v3
	s_or_b64 s[10:11], s[4:5], s[10:11]
	s_waitcnt lgkmcnt(0)
	v_add_u32_e32 v8, v6, v8
	s_andn2_b64 exec, exec, s[10:11]
	s_cbranch_execnz .LBB2_13
; %bb.14:
	s_or_b64 exec, exec, s[10:11]
.LBB2_15:
	s_or_b64 exec, exec, s[8:9]
.LBB2_16:
	s_or_b64 exec, exec, s[6:7]
	s_load_dwordx4 s[28:31], s[0:1], 0x18
	s_load_dwordx16 s[8:23], s[0:1], 0x38
	s_load_dwordx2 s[38:39], s[0:1], 0x90
	s_mul_i32 s4, s25, s34
	s_ashr_i32 s5, s4, 31
	s_waitcnt lgkmcnt(0)
	s_ashr_i32 s41, s30, 31
	s_mov_b32 s40, s30
	s_mul_i32 s30, s33, s34
	s_ashr_i32 s35, s34, 31
	s_mul_hi_i32 s43, s31, s34
	s_mul_i32 s42, s31, s34
	s_ashr_i32 s31, s30, 31
	s_lshl_b64 s[4:5], s[4:5], 2
	s_add_u32 s4, s18, s4
	s_mul_hi_u32 s6, s12, s34
	s_mul_i32 s7, s12, s35
	s_addc_u32 s5, s19, s5
	s_add_i32 s6, s6, s7
	s_mul_i32 s7, s13, s34
	v_ashrrev_i32_e32 v9, 31, v8
	s_add_i32 s19, s6, s7
	s_mul_i32 s18, s12, s34
	v_lshl_add_u64 v[6:7], v[8:9], 2, s[4:5]
	v_cmp_lt_i32_e64 s[4:5], 0, v1
	s_and_saveexec_b64 s[6:7], s[4:5]
	s_cbranch_execz .LBB2_22
; %bb.17:
	s_load_dwordx4 s[44:47], s[0:1], 0x28
	v_lshlrev_b64 v[4:5], 2, v[8:9]
	s_waitcnt lgkmcnt(0)
	s_ashr_i32 s5, s46, 31
	s_mov_b32 s4, s46
	s_mul_hi_i32 s13, s34, s47
	s_mul_i32 s12, s34, s47
	s_lshl_b64 s[12:13], s[12:13], 2
	s_lshl_b64 s[4:5], s[4:5], 2
	s_add_u32 s4, s12, s4
	s_addc_u32 s5, s13, s5
	s_add_u32 s4, s44, s4
	s_addc_u32 s5, s45, s5
	v_lshl_add_u64 v[10:11], s[4:5], 0, v[4:5]
	s_lshl_b64 s[4:5], s[42:43], 2
	s_lshl_b64 s[12:13], s[40:41], 2
	s_add_u32 s4, s4, s12
	s_addc_u32 s5, s5, s13
	s_add_u32 s4, s28, s4
	s_addc_u32 s5, s29, s5
	v_lshl_add_u64 v[12:13], s[4:5], 0, v[4:5]
	s_lshl_b64 s[4:5], s[30:31], 2
	s_add_u32 s4, s22, s4
	s_addc_u32 s5, s23, s5
	v_lshl_add_u64 v[14:15], s[4:5], 0, v[4:5]
	s_lshl_b64 s[4:5], s[18:19], 2
	s_add_u32 s4, s10, s4
	s_addc_u32 s5, s11, s5
	v_lshl_add_u64 v[16:17], s[4:5], 0, v[4:5]
	v_mov_b32_e32 v4, 0
	s_mov_b64 s[12:13], 0
	s_branch .LBB2_19
.LBB2_18:                               ;   in Loop: Header=BB2_19 Depth=1
	s_or_b64 exec, exec, s[44:45]
	v_add_u32_e32 v1, -1, v1
	v_cmp_eq_u32_e64 s[4:5], 0, v1
	global_store_dword v[14:15], v21, off
	global_store_dword v[16:17], v19, off
	v_add_u32_e32 v8, 1, v8
	v_lshl_add_u64 v[10:11], v[10:11], 0, 4
	v_lshl_add_u64 v[12:13], v[12:13], 0, 4
	;; [unrolled: 1-line block ×3, first 2 shown]
	s_or_b64 s[12:13], s[4:5], s[12:13]
	v_lshl_add_u64 v[16:17], v[16:17], 0, 4
	s_andn2_b64 exec, exec, s[12:13]
	s_cbranch_execz .LBB2_21
.LBB2_19:                               ; =>This Inner Loop Header: Depth=1
	global_load_dwordx2 v[20:21], v[12:13], off
	global_load_dword v19, v[10:11], off
	v_mov_b32_e32 v18, s38
	s_waitcnt vmcnt(1)
	v_mul_f32_e32 v3, v20, v21
	v_mul_f32_e64 v20, s38, |v3|
	s_waitcnt vmcnt(0)
	v_mov_b32_e32 v21, v19
	v_pk_mul_f32 v[20:21], v[18:19], v[20:21]
	s_nop 0
	v_add_f32_e32 v3, s39, v20
	v_cmp_gt_f32_e64 s[4:5], v3, v21
	s_and_saveexec_b64 s[44:45], s[4:5]
	s_cbranch_execz .LBB2_18
; %bb.20:                               ;   in Loop: Header=BB2_19 Depth=1
	v_ashrrev_i32_e32 v5, 31, v4
	v_add_u32_e32 v3, 1, v4
	v_lshl_add_u64 v[4:5], v[4:5], 2, v[6:7]
	global_store_dword v[4:5], v8, off
	v_mov_b32_e32 v21, 0
	v_mov_b32_e32 v19, 0
	;; [unrolled: 1-line block ×3, first 2 shown]
	s_branch .LBB2_18
.LBB2_21:
	s_or_b64 exec, exec, s[12:13]
.LBB2_22:
	s_or_b64 exec, exec, s[6:7]
	v_mov_b32_e32 v8, 0
	ds_write_b32 v2, v4
	s_waitcnt lgkmcnt(0)
	s_barrier
	s_and_saveexec_b64 s[4:5], vcc
	s_cbranch_execz .LBB2_38
; %bb.23:
	v_cmp_lt_u32_e32 vcc, 3, v0
	s_mov_b64 s[12:13], -1
	v_mov_b32_e32 v8, 0
	v_mov_b32_e32 v1, 0
	s_and_saveexec_b64 s[6:7], vcc
	s_cbranch_execz .LBB2_33
; %bb.24:
	v_add_u32_e32 v3, -4, v0
	v_mov_b32_e32 v10, 0
	v_lshrrev_b32_e32 v1, 2, v3
	v_mov_b32_e32 v11, v10
	v_add_u32_e32 v1, 1, v1
	v_cmp_lt_u32_e32 vcc, 27, v3
	s_mov_b32 s46, 0
	v_mov_b64_e32 v[8:9], v[10:11]
	v_mov_b32_e32 v5, v10
	s_and_saveexec_b64 s[12:13], vcc
	s_cbranch_execz .LBB2_28
; %bb.25:
	v_and_b32_e32 v3, 0x7ffffff8, v1
	s_mov_b32 s47, 0
	s_mov_b64 s[44:45], 0
	v_mov_b32_e32 v8, 0
	v_mov_b32_e32 v9, 0
	;; [unrolled: 1-line block ×4, first 2 shown]
.LBB2_26:                               ; =>This Inner Loop Header: Depth=1
	v_mov_b32_e32 v5, s46
	ds_read_b128 v[12:15], v5
	ds_read_b128 v[16:19], v5 offset:16
	ds_read_b128 v[20:23], v5 offset:32
	;; [unrolled: 1-line block ×7, first 2 shown]
	s_waitcnt lgkmcnt(7)
	v_add_u32_e32 v8, v12, v8
	v_add_u32_e32 v9, v13, v9
	v_add_u32_e32 v10, v14, v10
	v_add_u32_e32 v11, v15, v11
	s_waitcnt lgkmcnt(6)
	v_add_u32_e32 v9, v17, v9
	v_add_u32_e32 v8, v16, v8
	v_add_u32_e32 v11, v19, v11
	v_add_u32_e32 v10, v18, v10
	;; [unrolled: 5-line block ×5, first 2 shown]
	v_add_u32_e32 v3, -8, v3
	s_waitcnt lgkmcnt(2)
	v_add_u32_e32 v9, v33, v9
	v_add_u32_e32 v8, v32, v8
	;; [unrolled: 1-line block ×4, first 2 shown]
	s_add_i32 s47, s47, 32
	s_addk_i32 s46, 0x80
	v_cmp_eq_u32_e32 vcc, 0, v3
	s_waitcnt lgkmcnt(1)
	v_add_u32_e32 v8, v36, v8
	v_add_u32_e32 v9, v37, v9
	;; [unrolled: 1-line block ×4, first 2 shown]
	v_mov_b32_e32 v5, s47
	s_or_b64 s[44:45], vcc, s[44:45]
	s_waitcnt lgkmcnt(0)
	v_add_u32_e32 v9, v41, v9
	v_add_u32_e32 v8, v40, v8
	;; [unrolled: 1-line block ×4, first 2 shown]
	s_andn2_b64 exec, exec, s[44:45]
	s_cbranch_execnz .LBB2_26
; %bb.27:
	s_or_b64 exec, exec, s[44:45]
.LBB2_28:
	s_or_b64 exec, exec, s[12:13]
	v_and_b32_e32 v1, 7, v1
	v_cmp_ne_u32_e32 vcc, 0, v1
	s_and_saveexec_b64 s[12:13], vcc
	s_cbranch_execz .LBB2_32
; %bb.29:
	v_lshlrev_b32_e32 v3, 2, v5
	s_mov_b64 s[44:45], 0
.LBB2_30:                               ; =>This Inner Loop Header: Depth=1
	ds_read_b128 v[12:15], v3
	v_add_u32_e32 v1, -1, v1
	v_cmp_eq_u32_e32 vcc, 0, v1
	v_add_u32_e32 v3, 16, v3
	s_or_b64 s[44:45], vcc, s[44:45]
	s_waitcnt lgkmcnt(0)
	v_add_u32_e32 v9, v13, v9
	v_add_u32_e32 v8, v12, v8
	;; [unrolled: 1-line block ×4, first 2 shown]
	s_andn2_b64 exec, exec, s[44:45]
	s_cbranch_execnz .LBB2_30
; %bb.31:
	s_or_b64 exec, exec, s[44:45]
.LBB2_32:
	s_or_b64 exec, exec, s[12:13]
	v_and_b32_e32 v1, 0xfc, v0
	v_add_u32_e32 v3, v11, v9
	v_cmp_ne_u32_e32 vcc, v0, v1
	v_add3_u32 v8, v10, v8, v3
	s_orn2_b64 s[12:13], vcc, exec
.LBB2_33:
	s_or_b64 exec, exec, s[6:7]
	s_and_saveexec_b64 s[6:7], s[12:13]
	s_cbranch_execz .LBB2_37
; %bb.34:
	v_sub_u32_e32 v3, v0, v1
	v_lshlrev_b32_e32 v1, 2, v1
	s_mov_b64 s[12:13], 0
.LBB2_35:                               ; =>This Inner Loop Header: Depth=1
	ds_read_b32 v5, v1
	v_add_u32_e32 v3, -1, v3
	v_cmp_eq_u32_e32 vcc, 0, v3
	v_add_u32_e32 v1, 4, v1
	s_or_b64 s[12:13], vcc, s[12:13]
	s_waitcnt lgkmcnt(0)
	v_add_u32_e32 v8, v5, v8
	s_andn2_b64 exec, exec, s[12:13]
	s_cbranch_execnz .LBB2_35
; %bb.36:
	s_or_b64 exec, exec, s[12:13]
.LBB2_37:
	s_or_b64 exec, exec, s[6:7]
.LBB2_38:
	s_or_b64 exec, exec, s[4:5]
	s_mul_i32 s4, s16, s35
	s_mul_hi_u32 s5, s16, s34
	s_add_i32 s4, s5, s4
	s_mul_i32 s5, s17, s34
	s_add_i32 s7, s4, s5
	s_mul_i32 s6, s16, s34
	v_cmp_lt_i32_e32 vcc, 0, v4
	s_and_saveexec_b64 s[4:5], vcc
	s_cbranch_execz .LBB2_41
; %bb.39:
	s_lshl_b64 s[12:13], s[6:7], 2
	s_add_u32 s12, s14, s12
	v_ashrrev_i32_e32 v9, 31, v8
	s_addc_u32 s13, s15, s13
	v_lshl_add_u64 v[10:11], v[8:9], 2, s[12:13]
	s_mov_b64 s[12:13], 0
	v_mov_b32_e32 v1, v4
.LBB2_40:                               ; =>This Inner Loop Header: Depth=1
	global_load_dword v3, v[6:7], off
	v_add_u32_e32 v1, -1, v1
	v_cmp_eq_u32_e32 vcc, 0, v1
	v_lshl_add_u64 v[6:7], v[6:7], 0, 4
	s_or_b64 s[12:13], vcc, s[12:13]
	s_waitcnt vmcnt(0)
	v_add_u32_e32 v3, 1, v3
	global_store_dword v[10:11], v3, off
	v_lshl_add_u64 v[10:11], v[10:11], 0, 4
	s_andn2_b64 exec, exec, s[12:13]
	s_cbranch_execnz .LBB2_40
.LBB2_41:
	s_or_b64 exec, exec, s[4:5]
	s_movk_i32 s4, 0xff
	v_cmp_eq_u32_e64 s[4:5], s4, v0
	s_and_saveexec_b64 s[12:13], s[4:5]
	s_cbranch_execz .LBB2_43
; %bb.42:
	s_lshl_b64 s[16:17], s[34:35], 2
	s_add_u32 s8, s8, s16
	s_addc_u32 s9, s9, s17
	s_lshl_b64 s[6:7], s[6:7], 2
	s_add_u32 s6, s14, s6
	v_add_u32_e32 v4, v8, v4
	s_addc_u32 s7, s15, s7
	v_ashrrev_i32_e32 v5, 31, v4
	v_lshl_add_u64 v[6:7], v[4:5], 2, s[6:7]
	v_add_u32_e32 v3, 1, v4
	v_mov_b32_e32 v4, s25
	v_mov_b32_e32 v1, 0
	global_store_dword v[6:7], v4, off
	global_store_dword v1, v3, s[8:9]
.LBB2_43:
	s_or_b64 exec, exec, s[12:13]
	v_cmp_gt_i32_e32 vcc, s33, v0
	v_mov_b32_e32 v3, 0
	v_bfrev_b32_e32 v1, -2
	s_barrier
	s_and_saveexec_b64 s[8:9], vcc
	s_cbranch_execz .LBB2_47
; %bb.44:
	s_lshl_b64 s[6:7], s[30:31], 2
	s_add_u32 s6, s22, s6
	v_mov_b32_e32 v3, 0
	s_addc_u32 s7, s23, s7
	v_lshl_add_u64 v[4:5], s[6:7], 0, v[2:3]
	v_bfrev_b32_e32 v1, -2
	s_mov_b64 s[12:13], 0
	s_brev_b32 s16, -2
	s_mov_b64 s[14:15], 0x400
	v_mov_b32_e32 v6, v0
.LBB2_45:                               ; =>This Inner Loop Header: Depth=1
	global_load_dword v7, v[4:5], off
	v_cmp_eq_u32_e32 vcc, s16, v1
	v_add_u32_e32 v8, 1, v6
	v_add_u32_e32 v6, 0x100, v6
	v_cmp_le_i32_e64 s[6:7], s33, v6
	v_lshl_add_u64 v[4:5], v[4:5], 0, s[14:15]
	s_waitcnt vmcnt(0)
	v_cmp_lt_f32_e64 s[44:45], v3, |v7|
	s_or_b64 vcc, s[44:45], vcc
	v_cndmask_b32_e64 v3, v3, |v7|, vcc
	s_or_b64 s[12:13], s[6:7], s[12:13]
	v_cndmask_b32_e32 v1, v1, v8, vcc
	s_andn2_b64 exec, exec, s[12:13]
	s_cbranch_execnz .LBB2_45
; %bb.46:
	s_or_b64 exec, exec, s[12:13]
.LBB2_47:
	s_or_b64 exec, exec, s[8:9]
	s_cmp_lt_i32 s25, 3
	ds_write_b32 v2, v3 offset:1024
	ds_write_b32 v2, v1
	s_waitcnt lgkmcnt(0)
	s_barrier
	s_cbranch_scc1 .LBB2_82
; %bb.48:
	s_movk_i32 s6, 0x80
	v_or_b32_e32 v4, 0x400, v2
	v_cmp_gt_u32_e32 vcc, s6, v0
	s_and_saveexec_b64 s[8:9], vcc
	s_cbranch_execz .LBB2_54
; %bb.49:
	ds_read_b32 v5, v4 offset:512
	ds_read_b32 v6, v2 offset:512
	s_waitcnt lgkmcnt(1)
	v_cmp_lt_f32_e64 s[12:13], v3, v5
	v_cmp_nlt_f32_e32 vcc, v3, v5
	s_and_saveexec_b64 s[14:15], vcc
	s_cbranch_execz .LBB2_51
; %bb.50:
	v_cmp_eq_f32_e32 vcc, v3, v5
	s_waitcnt lgkmcnt(0)
	v_cmp_gt_i32_e64 s[6:7], v1, v6
	s_and_b64 s[6:7], vcc, s[6:7]
	s_andn2_b64 s[12:13], s[12:13], exec
	s_and_b64 s[6:7], s[6:7], exec
	s_or_b64 s[12:13], s[12:13], s[6:7]
.LBB2_51:
	s_or_b64 exec, exec, s[14:15]
	s_and_saveexec_b64 s[6:7], s[12:13]
	s_cbranch_execz .LBB2_53
; %bb.52:
	s_waitcnt lgkmcnt(0)
	v_mov_b32_e32 v1, v6
	v_mov_b32_e32 v3, v5
	ds_write_b32 v4, v5
	ds_write_b32 v2, v6
.LBB2_53:
	s_or_b64 exec, exec, s[6:7]
.LBB2_54:
	s_or_b64 exec, exec, s[8:9]
	v_cmp_gt_u32_e32 vcc, 64, v0
	s_waitcnt lgkmcnt(0)
	s_barrier
	s_and_saveexec_b64 s[12:13], vcc
	s_cbranch_execz .LBB2_81
; %bb.55:
	ds_read_b32 v5, v4 offset:256
	ds_read_b32 v6, v2 offset:256
	s_waitcnt lgkmcnt(1)
	v_cmp_lt_f32_e64 s[8:9], v3, v5
	v_cmp_nlt_f32_e32 vcc, v3, v5
	s_and_saveexec_b64 s[14:15], vcc
	s_cbranch_execz .LBB2_57
; %bb.56:
	v_cmp_eq_f32_e32 vcc, v3, v5
	s_waitcnt lgkmcnt(0)
	v_cmp_gt_i32_e64 s[6:7], v1, v6
	s_and_b64 s[6:7], vcc, s[6:7]
	s_andn2_b64 s[8:9], s[8:9], exec
	s_and_b64 s[6:7], s[6:7], exec
	s_or_b64 s[8:9], s[8:9], s[6:7]
.LBB2_57:
	s_or_b64 exec, exec, s[14:15]
	s_and_saveexec_b64 s[6:7], s[8:9]
	s_cbranch_execz .LBB2_59
; %bb.58:
	v_mov_b32_e32 v3, v5
	s_waitcnt lgkmcnt(0)
	v_mov_b32_e32 v1, v6
	ds_write_b32 v4, v5
	ds_write_b32 v2, v6
.LBB2_59:
	s_or_b64 exec, exec, s[6:7]
	ds_read_b32 v5, v4 offset:128
	s_waitcnt lgkmcnt(1)
	ds_read_b32 v6, v2 offset:128
	s_waitcnt lgkmcnt(1)
	v_cmp_lt_f32_e64 s[8:9], v3, v5
	v_cmp_nlt_f32_e32 vcc, v3, v5
	s_and_saveexec_b64 s[14:15], vcc
	s_cbranch_execz .LBB2_61
; %bb.60:
	v_cmp_eq_f32_e32 vcc, v3, v5
	s_waitcnt lgkmcnt(0)
	v_cmp_gt_i32_e64 s[6:7], v1, v6
	s_and_b64 s[6:7], vcc, s[6:7]
	s_andn2_b64 s[8:9], s[8:9], exec
	s_and_b64 s[6:7], s[6:7], exec
	s_or_b64 s[8:9], s[8:9], s[6:7]
.LBB2_61:
	s_or_b64 exec, exec, s[14:15]
	s_and_saveexec_b64 s[6:7], s[8:9]
	s_cbranch_execz .LBB2_63
; %bb.62:
	v_mov_b32_e32 v3, v5
	s_waitcnt lgkmcnt(0)
	v_mov_b32_e32 v1, v6
	ds_write_b32 v4, v5
	ds_write_b32 v2, v6
.LBB2_63:
	s_or_b64 exec, exec, s[6:7]
	ds_read_b32 v5, v4 offset:64
	s_waitcnt lgkmcnt(1)
	;; [unrolled: 28-line block ×6, first 2 shown]
	ds_read_b32 v6, v2 offset:4
	s_waitcnt lgkmcnt(1)
	v_cmp_eq_f32_e64 s[6:7], v3, v5
	s_waitcnt lgkmcnt(0)
	v_cmp_gt_i32_e64 s[8:9], v1, v6
	v_cmp_lt_f32_e32 vcc, v3, v5
	s_and_b64 s[6:7], s[6:7], s[8:9]
	s_or_b64 s[6:7], vcc, s[6:7]
	s_and_b64 exec, exec, s[6:7]
	s_cbranch_execz .LBB2_81
; %bb.80:
	ds_write_b32 v4, v5
	ds_write_b32 v2, v6
.LBB2_81:
	s_or_b64 exec, exec, s[12:13]
.LBB2_82:
	v_mov_b32_e32 v1, 0
	s_waitcnt lgkmcnt(0)
	s_barrier
	ds_read_b32 v1, v1 offset:1024
	s_load_dwordx4 s[12:15], s[0:1], 0x78
	s_load_dwordx2 s[8:9], s[0:1], 0x88
	v_mov_b32_e32 v2, s39
	s_mov_b64 s[0:1], -1
	s_cmpk_lg_i32 s24, 0xe9
	s_waitcnt lgkmcnt(0)
	v_mul_f32_e32 v1, s39, v1
	v_cmp_gt_f32_e32 vcc, s39, v1
	s_nop 1
	v_cndmask_b32_e32 v6, v1, v2, vcc
	v_mov_b32_e32 v2, s27
	v_mov_b32_e32 v1, s26
	s_cbranch_scc1 .LBB2_131
; %bb.83:
	s_lshl_b64 s[26:27], s[42:43], 2
	s_add_u32 s0, s28, s26
	s_addc_u32 s1, s29, s27
	s_lshl_b64 s[40:41], s[40:41], 2
	s_add_u32 s42, s0, s40
	s_addc_u32 s43, s1, s41
	;; [unrolled: 3-line block ×4, first 2 shown]
	s_lshl_b32 s10, s25, 1
	s_mul_i32 s0, s10, s34
	s_ashr_i32 s1, s0, 31
	s_lshl_b64 s[16:17], s[0:1], 2
	s_add_u32 s6, s14, s16
	s_addc_u32 s7, s15, s17
	s_add_u32 s18, s8, s16
	s_addc_u32 s19, s9, s17
	s_and_saveexec_b64 s[44:45], s[2:3]
	s_cbranch_execz .LBB2_91
; %bb.84:
	v_mov_b32_e32 v5, 0
	global_load_dword v1, v5, s[42:43]
	global_load_dword v3, v5, s[30:31]
	s_cmp_gt_i32 s25, 1
	s_cselect_b64 s[46:47], -1, 0
	s_cmp_lt_i32 s25, 2
	s_waitcnt vmcnt(0)
	v_sub_f32_e64 v2, v1, |v3|
	v_sub_f32_e32 v7, v1, v2
	v_cmp_le_f32_e32 vcc, v7, v6
	s_nop 1
	v_cndmask_b32_e64 v4, 0, 1, vcc
	s_cbranch_scc1 .LBB2_87
; %bb.85:
	v_cmp_gt_f32_e64 s[0:1], v7, -v6
	s_and_b64 s[0:1], vcc, s[0:1]
	s_mov_b64 s[50:51], s[22:23]
	v_cndmask_b32_e64 v7, v7, -v6, s[0:1]
	s_add_u32 s0, s26, s40
	s_addc_u32 s1, s27, s41
	s_add_u32 s0, s28, s0
	s_addc_u32 s1, s29, s1
	;; [unrolled: 2-line block ×3, first 2 shown]
	s_mov_b32 s11, s33
.LBB2_86:                               ; =>This Inner Loop Header: Depth=1
	global_load_dword v8, v5, s[48:49]
	global_load_dword v9, v5, s[50:51]
	s_add_i32 s11, s11, -1
	s_waitcnt vmcnt(1)
	v_sub_f32_e32 v8, v8, v2
	s_waitcnt vmcnt(0)
	v_div_scale_f32 v10, s[0:1], v7, v7, v9
	v_rcp_f32_e32 v12, v10
	v_div_scale_f32 v11, vcc, v9, v7, v9
	v_fma_f32 v13, -v10, v12, 1.0
	v_fmac_f32_e32 v12, v13, v12
	v_mul_f32_e32 v13, v11, v12
	v_fma_f32 v14, -v10, v13, v11
	v_fmac_f32_e32 v13, v14, v12
	v_fma_f32 v10, -v10, v13, v11
	v_div_fmas_f32 v10, v10, v12, v13
	v_div_fixup_f32 v7, v10, v7, v9
	v_sub_f32_e32 v7, v8, v7
	v_cmp_le_f32_e32 vcc, v7, v6
	v_cmp_gt_f32_e64 s[52:53], v7, -v6
	s_nop 0
	v_addc_co_u32_e64 v4, s[0:1], 0, v4, vcc
	s_and_b64 s[0:1], vcc, s[52:53]
	s_add_u32 s48, s48, 4
	s_addc_u32 s49, s49, 0
	s_add_u32 s50, s50, 4
	s_addc_u32 s51, s51, 0
	s_cmp_lg_u32 s11, 0
	v_cndmask_b32_e64 v7, v7, -v6, s[0:1]
	s_cbranch_scc1 .LBB2_86
.LBB2_87:
	v_and_b32_e32 v3, 0x7fffffff, v3
	v_add_f32_e32 v3, v1, v3
	v_sub_f32_e32 v1, v1, v3
	v_cmp_le_f32_e64 s[0:1], v1, v6
	s_andn2_b64 vcc, exec, s[46:47]
	s_nop 0
	v_cndmask_b32_e64 v5, 0, 1, s[0:1]
	s_cbranch_vccnz .LBB2_90
; %bb.88:
	v_cmp_gt_f32_e64 s[46:47], v1, -v6
	s_and_b64 s[0:1], s[0:1], s[46:47]
	v_cndmask_b32_e64 v7, v1, -v6, s[0:1]
	s_add_u32 s0, s26, s40
	s_addc_u32 s1, s27, s41
	s_add_u32 s0, s28, s0
	s_addc_u32 s1, s29, s1
	;; [unrolled: 2-line block ×3, first 2 shown]
	v_mov_b32_e32 v1, 0
	s_mov_b64 s[48:49], s[22:23]
	s_mov_b32 s11, s33
.LBB2_89:                               ; =>This Inner Loop Header: Depth=1
	global_load_dword v8, v1, s[46:47]
	global_load_dword v9, v1, s[48:49]
	s_add_i32 s11, s11, -1
	s_waitcnt vmcnt(1)
	v_sub_f32_e32 v8, v8, v3
	s_waitcnt vmcnt(0)
	v_div_scale_f32 v10, s[0:1], v7, v7, v9
	v_rcp_f32_e32 v12, v10
	v_div_scale_f32 v11, vcc, v9, v7, v9
	v_fma_f32 v13, -v10, v12, 1.0
	v_fmac_f32_e32 v12, v13, v12
	v_mul_f32_e32 v13, v11, v12
	v_fma_f32 v14, -v10, v13, v11
	v_fmac_f32_e32 v13, v14, v12
	v_fma_f32 v10, -v10, v13, v11
	v_div_fmas_f32 v10, v10, v12, v13
	v_div_fixup_f32 v7, v10, v7, v9
	v_sub_f32_e32 v7, v8, v7
	v_cmp_le_f32_e32 vcc, v7, v6
	v_cmp_gt_f32_e64 s[50:51], v7, -v6
	s_nop 0
	v_addc_co_u32_e64 v5, s[0:1], 0, v5, vcc
	s_and_b64 s[0:1], vcc, s[50:51]
	s_add_u32 s46, s46, 4
	s_addc_u32 s47, s47, 0
	s_add_u32 s48, s48, 4
	s_addc_u32 s49, s49, 0
	s_cmp_lg_u32 s11, 0
	v_cndmask_b32_e64 v7, v7, -v6, s[0:1]
	s_cbranch_scc1 .LBB2_89
.LBB2_90:
	v_mov_b32_e32 v1, 0
	global_store_dwordx2 v1, v[2:3], s[6:7]
	global_store_dwordx2 v1, v[4:5], s[18:19]
.LBB2_91:
	s_or_b64 exec, exec, s[44:45]
	v_add_u32_e32 v0, 1, v0
	v_cmp_gt_i32_e32 vcc, s33, v0
	s_and_saveexec_b64 s[44:45], vcc
	s_cbranch_execz .LBB2_98
; %bb.92:
	s_add_u32 s0, s26, s40
	s_addc_u32 s1, s27, s41
	s_add_u32 s0, s28, s0
	s_addc_u32 s1, s29, s1
	;; [unrolled: 2-line block ×3, first 2 shown]
	s_mov_b64 s[48:49], 0
	v_mov_b32_e32 v1, 0
.LBB2_93:                               ; =>This Loop Header: Depth=1
                                        ;     Child Loop BB2_94 Depth 2
                                        ;     Child Loop BB2_96 Depth 2
	v_lshlrev_b64 v[2:3], 2, v[0:1]
	v_lshl_add_u64 v[8:9], s[30:31], 0, v[2:3]
	v_lshl_add_u64 v[4:5], s[42:43], 0, v[2:3]
	global_load_dwordx2 v[10:11], v[8:9], off offset:-4
	global_load_dword v3, v[4:5], off
	global_load_dword v7, v1, s[42:43]
	s_mov_b32 s11, 1
	s_mov_b64 s[50:51], s[22:23]
	s_mov_b64 s[52:53], s[46:47]
	s_waitcnt vmcnt(2)
	v_add_f32_e64 v5, |v11|, |v10|
	s_waitcnt vmcnt(1)
	v_sub_f32_e32 v4, v3, v5
	s_waitcnt vmcnt(0)
	v_sub_f32_e32 v8, v7, v4
	v_cmp_le_f32_e32 vcc, v8, v6
	v_cmp_gt_f32_e64 s[0:1], v8, -v6
	s_and_b64 s[0:1], vcc, s[0:1]
	v_cndmask_b32_e64 v2, 0, 1, vcc
	v_cndmask_b32_e64 v8, v8, -v6, s[0:1]
.LBB2_94:                               ;   Parent Loop BB2_93 Depth=1
                                        ; =>  This Inner Loop Header: Depth=2
	global_load_dword v9, v1, s[52:53]
	global_load_dword v10, v1, s[50:51]
	s_add_i32 s11, s11, 1
	s_waitcnt vmcnt(1)
	v_sub_f32_e32 v9, v9, v4
	s_waitcnt vmcnt(0)
	v_div_scale_f32 v11, s[0:1], v8, v8, v10
	v_rcp_f32_e32 v13, v11
	v_div_scale_f32 v12, vcc, v10, v8, v10
	v_fma_f32 v14, -v11, v13, 1.0
	v_fmac_f32_e32 v13, v14, v13
	v_mul_f32_e32 v14, v12, v13
	v_fma_f32 v15, -v11, v14, v12
	v_fmac_f32_e32 v14, v15, v13
	v_fma_f32 v11, -v11, v14, v12
	v_div_fmas_f32 v11, v11, v13, v14
	v_div_fixup_f32 v8, v11, v8, v10
	v_sub_f32_e32 v8, v9, v8
	v_cmp_le_f32_e32 vcc, v8, v6
	v_cmp_gt_f32_e64 s[54:55], v8, -v6
	s_nop 0
	v_addc_co_u32_e64 v2, s[0:1], 0, v2, vcc
	s_and_b64 s[0:1], vcc, s[54:55]
	s_add_u32 s52, s52, 4
	s_addc_u32 s53, s53, 0
	s_add_u32 s50, s50, 4
	s_addc_u32 s51, s51, 0
	s_cmp_lg_u32 s25, s11
	v_cndmask_b32_e64 v8, v8, -v6, s[0:1]
	s_cbranch_scc1 .LBB2_94
; %bb.95:                               ;   in Loop: Header=BB2_93 Depth=1
	v_add_f32_e32 v5, v3, v5
	v_sub_f32_e32 v7, v7, v5
	v_cmp_le_f32_e32 vcc, v7, v6
	v_cmp_gt_f32_e64 s[0:1], v7, -v6
	s_and_b64 s[0:1], vcc, s[0:1]
	v_cndmask_b32_e64 v3, 0, 1, vcc
	v_cndmask_b32_e64 v7, v7, -v6, s[0:1]
	s_mov_b64 s[50:51], s[22:23]
	s_mov_b64 s[52:53], s[46:47]
	s_mov_b32 s11, s33
.LBB2_96:                               ;   Parent Loop BB2_93 Depth=1
                                        ; =>  This Inner Loop Header: Depth=2
	global_load_dword v8, v1, s[52:53]
	global_load_dword v9, v1, s[50:51]
	s_add_i32 s11, s11, -1
	s_waitcnt vmcnt(1)
	v_sub_f32_e32 v8, v8, v5
	s_waitcnt vmcnt(0)
	v_div_scale_f32 v10, s[0:1], v7, v7, v9
	v_rcp_f32_e32 v12, v10
	v_div_scale_f32 v11, vcc, v9, v7, v9
	v_fma_f32 v13, -v10, v12, 1.0
	v_fmac_f32_e32 v12, v13, v12
	v_mul_f32_e32 v13, v11, v12
	v_fma_f32 v14, -v10, v13, v11
	v_fmac_f32_e32 v13, v14, v12
	v_fma_f32 v10, -v10, v13, v11
	v_div_fmas_f32 v10, v10, v12, v13
	v_div_fixup_f32 v7, v10, v7, v9
	v_sub_f32_e32 v7, v8, v7
	v_cmp_le_f32_e32 vcc, v7, v6
	v_cmp_gt_f32_e64 s[54:55], v7, -v6
	s_nop 0
	v_addc_co_u32_e64 v3, s[0:1], 0, v3, vcc
	s_and_b64 s[0:1], vcc, s[54:55]
	s_add_u32 s52, s52, 4
	s_addc_u32 s53, s53, 0
	s_add_u32 s50, s50, 4
	s_addc_u32 s51, s51, 0
	s_cmp_lg_u32 s11, 0
	v_cndmask_b32_e64 v7, v7, -v6, s[0:1]
	s_cbranch_scc1 .LBB2_96
; %bb.97:                               ;   in Loop: Header=BB2_93 Depth=1
	v_lshlrev_b32_e32 v8, 1, v0
	v_mov_b32_e32 v9, v1
	v_add_u32_e32 v0, 0x100, v0
	v_lshlrev_b64 v[8:9], 2, v[8:9]
	v_cmp_le_i32_e32 vcc, s33, v0
	v_lshl_add_u64 v[10:11], s[6:7], 0, v[8:9]
	v_lshl_add_u64 v[8:9], s[18:19], 0, v[8:9]
	s_or_b64 s[48:49], vcc, s[48:49]
	global_store_dwordx2 v[10:11], v[4:5], off
	global_store_dwordx2 v[8:9], v[2:3], off
	s_andn2_b64 exec, exec, s[48:49]
	s_cbranch_execnz .LBB2_93
.LBB2_98:
	s_or_b64 exec, exec, s[44:45]
	s_and_saveexec_b64 s[44:45], s[4:5]
	s_cbranch_execz .LBB2_106
; %bb.99:
	s_ashr_i32 s1, s25, 31
	s_mov_b32 s0, s25
	s_lshl_b64 s[0:1], s[0:1], 2
	s_add_u32 s4, s42, s0
	s_addc_u32 s5, s43, s1
	v_mov_b32_e32 v5, 0
	s_add_u32 s0, s30, s0
	s_addc_u32 s1, s31, s1
	global_load_dword v1, v5, s[4:5] offset:-4
	global_load_dword v4, v5, s[0:1] offset:-8
	global_load_dword v3, v5, s[42:43]
	s_cmp_gt_i32 s25, 1
	s_cselect_b64 s[4:5], -1, 0
	s_cmp_lt_i32 s25, 2
	s_waitcnt vmcnt(1)
	v_sub_f32_e64 v0, v1, |v4|
	s_waitcnt vmcnt(0)
	v_sub_f32_e32 v7, v3, v0
	v_cmp_le_f32_e32 vcc, v7, v6
	s_nop 1
	v_cndmask_b32_e64 v2, 0, 1, vcc
	s_cbranch_scc1 .LBB2_102
; %bb.100:
	v_cmp_gt_f32_e64 s[0:1], v7, -v6
	s_and_b64 s[0:1], vcc, s[0:1]
	s_mov_b64 s[42:43], s[22:23]
	v_cndmask_b32_e64 v7, v7, -v6, s[0:1]
	s_add_u32 s0, s26, s40
	s_addc_u32 s1, s27, s41
	s_add_u32 s0, s28, s0
	s_addc_u32 s1, s29, s1
	;; [unrolled: 2-line block ×3, first 2 shown]
	s_mov_b32 s11, s33
.LBB2_101:                              ; =>This Inner Loop Header: Depth=1
	global_load_dword v8, v5, s[30:31]
	global_load_dword v9, v5, s[42:43]
	s_add_i32 s11, s11, -1
	s_waitcnt vmcnt(1)
	v_sub_f32_e32 v8, v8, v0
	s_waitcnt vmcnt(0)
	v_div_scale_f32 v10, s[0:1], v7, v7, v9
	v_rcp_f32_e32 v12, v10
	v_div_scale_f32 v11, vcc, v9, v7, v9
	v_fma_f32 v13, -v10, v12, 1.0
	v_fmac_f32_e32 v12, v13, v12
	v_mul_f32_e32 v13, v11, v12
	v_fma_f32 v14, -v10, v13, v11
	v_fmac_f32_e32 v13, v14, v12
	v_fma_f32 v10, -v10, v13, v11
	v_div_fmas_f32 v10, v10, v12, v13
	v_div_fixup_f32 v7, v10, v7, v9
	v_sub_f32_e32 v7, v8, v7
	v_cmp_le_f32_e32 vcc, v7, v6
	v_cmp_gt_f32_e64 s[46:47], v7, -v6
	s_nop 0
	v_addc_co_u32_e64 v2, s[0:1], 0, v2, vcc
	s_and_b64 s[0:1], vcc, s[46:47]
	s_add_u32 s30, s30, 4
	s_addc_u32 s31, s31, 0
	s_add_u32 s42, s42, 4
	s_addc_u32 s43, s43, 0
	s_cmp_lg_u32 s11, 0
	v_cndmask_b32_e64 v7, v7, -v6, s[0:1]
	s_cbranch_scc1 .LBB2_101
.LBB2_102:
	v_and_b32_e32 v4, 0x7fffffff, v4
	v_add_f32_e32 v1, v1, v4
	v_sub_f32_e32 v4, v3, v1
	v_cmp_le_f32_e64 s[0:1], v4, v6
	s_andn2_b64 vcc, exec, s[4:5]
	s_nop 0
	v_cndmask_b32_e64 v3, 0, 1, s[0:1]
	s_cbranch_vccnz .LBB2_105
; %bb.103:
	v_cmp_gt_f32_e64 s[4:5], v4, -v6
	s_and_b64 s[0:1], s[0:1], s[4:5]
	v_cndmask_b32_e64 v5, v4, -v6, s[0:1]
	s_add_u32 s0, s26, s40
	s_addc_u32 s1, s27, s41
	s_add_u32 s0, s28, s0
	s_addc_u32 s1, s29, s1
	;; [unrolled: 2-line block ×3, first 2 shown]
	v_mov_b32_e32 v4, 0
.LBB2_104:                              ; =>This Inner Loop Header: Depth=1
	global_load_dword v7, v4, s[4:5]
	global_load_dword v8, v4, s[22:23]
	s_add_i32 s33, s33, -1
	s_waitcnt vmcnt(1)
	v_sub_f32_e32 v7, v7, v1
	s_waitcnt vmcnt(0)
	v_div_scale_f32 v9, s[0:1], v5, v5, v8
	v_rcp_f32_e32 v11, v9
	v_div_scale_f32 v10, vcc, v8, v5, v8
	v_fma_f32 v12, -v9, v11, 1.0
	v_fmac_f32_e32 v11, v12, v11
	v_mul_f32_e32 v12, v10, v11
	v_fma_f32 v13, -v9, v12, v10
	v_fmac_f32_e32 v12, v13, v11
	v_fma_f32 v9, -v9, v12, v10
	v_div_fmas_f32 v9, v9, v11, v12
	v_div_fixup_f32 v5, v9, v5, v8
	v_sub_f32_e32 v5, v7, v5
	v_cmp_le_f32_e32 vcc, v5, v6
	v_cmp_gt_f32_e64 s[26:27], v5, -v6
	s_nop 0
	v_addc_co_u32_e64 v3, s[0:1], 0, v3, vcc
	s_and_b64 s[0:1], vcc, s[26:27]
	s_add_u32 s4, s4, 4
	s_addc_u32 s5, s5, 0
	s_add_u32 s22, s22, 4
	s_addc_u32 s23, s23, 0
	s_cmp_lg_u32 s33, 0
	v_cndmask_b32_e64 v5, v5, -v6, s[0:1]
	s_cbranch_scc1 .LBB2_104
.LBB2_105:
	s_ashr_i32 s11, s10, 31
	s_lshl_b64 s[0:1], s[10:11], 2
	s_add_u32 s4, s6, s0
	s_addc_u32 s5, s7, s1
	v_mov_b32_e32 v4, 0
	s_add_u32 s0, s18, s0
	s_addc_u32 s1, s19, s1
	global_store_dwordx2 v4, v[0:1], s[4:5] offset:-8
	global_store_dwordx2 v4, v[2:3], s[0:1] offset:-8
.LBB2_106:
	s_or_b64 exec, exec, s[44:45]
	s_mov_b64 s[0:1], 0
	s_barrier
                                        ; implicit-def: $vgpr2
                                        ; implicit-def: $vgpr1
	s_and_saveexec_b64 s[22:23], s[2:3]
	s_cbranch_execz .LBB2_130
; %bb.107:
	s_cmp_gt_i32 s25, 0
	s_cselect_b64 s[4:5], -1, 0
	s_cmp_lt_i32 s25, 1
	s_mov_b32 s26, 1
	s_cbranch_scc1 .LBB2_115
; %bb.108:
	s_cmp_lg_u64 s[8:9], 0
	s_cselect_b64 s[0:1], -1, 0
	s_add_u32 s11, s14, s16
	s_addc_u32 s15, s15, s17
	s_add_u32 s14, s11, 4
	v_cndmask_b32_e64 v1, 0, 1, s[0:1]
	s_addc_u32 s15, s15, 0
	v_mov_b32_e32 v0, 0
	v_cmp_ne_u32_e64 s[0:1], 1, v1
	s_branch .LBB2_110
.LBB2_109:                              ;   in Loop: Header=BB2_110 Depth=1
	s_add_i32 s26, s26, 1
	s_add_u32 s14, s14, 4
	s_addc_u32 s15, s15, 0
	s_cmp_lg_u32 s26, s10
	s_cbranch_scc0 .LBB2_115
.LBB2_110:                              ; =>This Loop Header: Depth=1
                                        ;     Child Loop BB2_111 Depth 2
	s_ashr_i32 s27, s26, 31
	s_add_i32 s11, s26, -1
	s_lshl_b64 s[28:29], s[26:27], 2
	s_add_u32 s30, s6, s28
	s_addc_u32 s31, s7, s29
	global_load_dword v1, v0, s[30:31] offset:-4
	s_mov_b64 s[42:43], s[14:15]
	s_mov_b32 s27, s26
	s_mov_b32 s40, s11
	s_waitcnt vmcnt(0)
	v_mov_b32_e32 v2, v1
.LBB2_111:                              ;   Parent Loop BB2_110 Depth=1
                                        ; =>  This Inner Loop Header: Depth=2
	global_load_dword v3, v0, s[42:43]
	s_waitcnt vmcnt(0)
	v_cmp_lt_f32_e32 vcc, v3, v2
	s_and_b64 s[44:45], vcc, exec
	s_cselect_b32 s40, s27, s40
	s_add_i32 s27, s27, 1
	s_add_u32 s42, s42, 4
	s_addc_u32 s43, s43, 0
	v_cndmask_b32_e32 v2, v2, v3, vcc
	s_cmp_eq_u32 s10, s27
	s_cbranch_scc0 .LBB2_111
; %bb.112:                              ;   in Loop: Header=BB2_110 Depth=1
	s_cmp_lg_u32 s40, s11
	s_cbranch_scc0 .LBB2_109
; %bb.113:                              ;   in Loop: Header=BB2_110 Depth=1
	s_ashr_i32 s41, s40, 31
	s_lshl_b64 s[40:41], s[40:41], 2
	s_add_u32 s42, s6, s40
	s_addc_u32 s43, s7, s41
	s_and_b64 vcc, exec, s[0:1]
	global_store_dword v0, v1, s[42:43]
	global_store_dword v0, v2, s[30:31] offset:-4
	s_cbranch_vccnz .LBB2_109
; %bb.114:                              ;   in Loop: Header=BB2_110 Depth=1
	s_add_u32 s28, s18, s28
	s_addc_u32 s29, s19, s29
	s_add_u32 s30, s18, s40
	s_addc_u32 s31, s19, s41
	global_load_dword v1, v0, s[28:29] offset:-4
	global_load_dword v2, v0, s[30:31]
	s_waitcnt vmcnt(1)
	global_store_dword v0, v1, s[30:31]
	s_waitcnt vmcnt(1)
	global_store_dword v0, v2, s[28:29] offset:-4
	s_branch .LBB2_109
.LBB2_115:
	s_ashr_i32 s11, s10, 31
	s_lshl_b64 s[0:1], s[10:11], 2
	v_mov_b32_e32 v0, 0
	s_add_u32 s14, s6, s0
	s_addc_u32 s15, s7, s1
	global_load_dword v1, v0, s[6:7]
	global_load_dword v2, v0, s[14:15] offset:-4
	v_cvt_f32_i32_e32 v3, s25
	v_cndmask_b32_e64 v4, 0, 1, s[4:5]
	s_andn2_b64 vcc, exec, s[4:5]
	v_cmp_ne_u32_e64 s[0:1], 1, v4
	s_waitcnt vmcnt(0)
	v_cmp_lt_f32_e64 s[4:5], |v1|, |v2|
	s_nop 1
	v_cndmask_b32_e64 v4, v1, v2, s[4:5]
	v_mul_f32_e64 v4, s38, |v4|
	v_fma_f32 v1, -v4, v3, v1
	v_fmac_f32_e32 v2, v4, v3
	v_sub_f32_e32 v1, v1, v6
	v_add_f32_e32 v2, v6, v2
	global_store_dword v0, v1, s[6:7]
	global_store_dword v0, v2, s[14:15] offset:-4
	s_cbranch_vccnz .LBB2_121
; %bb.116:
	s_max_i32 s11, s10, 2
	s_add_i32 s11, s11, -1
	s_add_u32 s4, s8, s16
	s_addc_u32 s5, s9, s17
	s_add_u32 s4, s4, 4
	s_addc_u32 s5, s5, 0
	s_mov_b32 s15, 0
	s_branch .LBB2_118
.LBB2_117:                              ;   in Loop: Header=BB2_118 Depth=1
	s_add_i32 s15, s15, 1
	s_add_u32 s4, s4, 4
	s_addc_u32 s5, s5, 0
	s_cmp_eq_u32 s11, s15
	s_cselect_b64 s[18:19], -1, 0
	s_mov_b32 s14, s11
	s_andn2_b64 vcc, exec, s[18:19]
	s_cbranch_vccz .LBB2_120
.LBB2_118:                              ; =>This Inner Loop Header: Depth=1
	global_load_dword v1, v0, s[4:5]
	s_mov_b64 s[18:19], -1
	s_waitcnt vmcnt(0)
	v_cmp_le_i32_e32 vcc, s36, v1
	s_cbranch_vccz .LBB2_117
; %bb.119:                              ;   in Loop: Header=BB2_118 Depth=1
                                        ; implicit-def: $sgpr4_sgpr5
	s_mov_b32 s14, s15
	s_andn2_b64 vcc, exec, s[18:19]
	s_cbranch_vccnz .LBB2_118
.LBB2_120:
	s_mov_b32 s15, 0
	s_branch .LBB2_122
.LBB2_121:
	s_mov_b64 s[14:15], 0
.LBB2_122:
	s_lshl_b64 s[4:5], s[14:15], 2
	s_add_u32 s4, s6, s4
	s_addc_u32 s5, s7, s5
	v_mov_b32_e32 v0, 0
	global_load_dword v1, v0, s[4:5]
	s_and_b64 vcc, exec, s[0:1]
	s_mov_b32 s5, 1
	s_cbranch_vccnz .LBB2_128
; %bb.123:
	s_max_i32 s10, s10, 2
	s_add_i32 s11, s10, -1
	s_add_u32 s0, s8, s16
	s_addc_u32 s1, s9, s17
	s_add_u32 s0, s0, 4
	s_addc_u32 s1, s1, 0
	s_branch .LBB2_125
.LBB2_124:                              ;   in Loop: Header=BB2_125 Depth=1
	s_mov_b32 s4, s5
                                        ; implicit-def: $sgpr0_sgpr1
	s_andn2_b64 vcc, exec, s[8:9]
	s_cbranch_vccz .LBB2_127
.LBB2_125:                              ; =>This Inner Loop Header: Depth=1
	global_load_dword v2, v0, s[0:1]
	s_mov_b64 s[8:9], -1
	s_waitcnt vmcnt(0)
	v_cmp_gt_i32_e32 vcc, s37, v2
	s_cbranch_vccz .LBB2_124
; %bb.126:                              ;   in Loop: Header=BB2_125 Depth=1
	s_add_i32 s5, s5, 1
	s_add_u32 s0, s0, 4
	s_addc_u32 s1, s1, 0
	s_cmp_eq_u32 s10, s5
	s_cselect_b64 s[8:9], -1, 0
	s_mov_b32 s4, s11
	s_andn2_b64 vcc, exec, s[8:9]
	s_cbranch_vccnz .LBB2_125
.LBB2_127:
	s_ashr_i32 s5, s4, 31
	s_branch .LBB2_129
.LBB2_128:
	s_mov_b64 s[4:5], 0
.LBB2_129:
	s_lshl_b64 s[4:5], s[4:5], 2
	s_add_u32 s4, s6, s4
	s_addc_u32 s5, s7, s5
	v_mov_b32_e32 v0, 0
	global_load_dword v2, v0, s[4:5]
	s_mov_b64 s[0:1], exec
.LBB2_130:
	s_or_b64 exec, exec, s[22:23]
.LBB2_131:
	s_and_saveexec_b64 s[4:5], s[0:1]
	s_cbranch_execz .LBB2_134
; %bb.132:
	s_and_b64 exec, exec, s[2:3]
	s_cbranch_execz .LBB2_134
; %bb.133:
	s_lshl_b64 s[0:1], s[34:35], 2
	s_add_u32 s0, s20, s0
	s_addc_u32 s1, s21, s1
	s_lshl_b32 s2, s34, 1
	s_ashr_i32 s3, s2, 31
	s_lshl_b64 s[2:3], s[2:3], 2
	s_add_u32 s2, s12, s2
	s_addc_u32 s3, s13, s3
	s_cmpk_eq_i32 s24, 0xe7
	v_mov_b32_e32 v0, 0
	s_cselect_b64 s[4:5], -1, 0
	s_waitcnt vmcnt(0)
	v_cndmask_b32_e64 v3, v2, 0, s[4:5]
	v_cndmask_b32_e64 v2, v1, 0, s[4:5]
	global_store_dword v0, v6, s[0:1]
	global_store_dwordx2 v0, v[2:3], s[2:3]
.LBB2_134:
	s_endpgm
	.section	.rodata,"a",@progbits
	.p2align	6, 0x0
	.amdhsa_kernel _ZN9rocsolver6v33100L22stebz_splitting_kernelIfPfEEv15rocblas_erange_iT_S4_iiT0_iiS5_iiPiPS4_lS6_lS6_S7_S7_S7_S7_S6_S4_S4_
		.amdhsa_group_segment_fixed_size 2048
		.amdhsa_private_segment_fixed_size 0
		.amdhsa_kernarg_size 152
		.amdhsa_user_sgpr_count 2
		.amdhsa_user_sgpr_dispatch_ptr 0
		.amdhsa_user_sgpr_queue_ptr 0
		.amdhsa_user_sgpr_kernarg_segment_ptr 1
		.amdhsa_user_sgpr_dispatch_id 0
		.amdhsa_user_sgpr_kernarg_preload_length 0
		.amdhsa_user_sgpr_kernarg_preload_offset 0
		.amdhsa_user_sgpr_private_segment_size 0
		.amdhsa_uses_dynamic_stack 0
		.amdhsa_enable_private_segment 0
		.amdhsa_system_sgpr_workgroup_id_x 1
		.amdhsa_system_sgpr_workgroup_id_y 1
		.amdhsa_system_sgpr_workgroup_id_z 0
		.amdhsa_system_sgpr_workgroup_info 0
		.amdhsa_system_vgpr_workitem_id 0
		.amdhsa_next_free_vgpr 44
		.amdhsa_next_free_sgpr 56
		.amdhsa_accum_offset 44
		.amdhsa_reserve_vcc 1
		.amdhsa_float_round_mode_32 0
		.amdhsa_float_round_mode_16_64 0
		.amdhsa_float_denorm_mode_32 3
		.amdhsa_float_denorm_mode_16_64 3
		.amdhsa_dx10_clamp 1
		.amdhsa_ieee_mode 1
		.amdhsa_fp16_overflow 0
		.amdhsa_tg_split 0
		.amdhsa_exception_fp_ieee_invalid_op 0
		.amdhsa_exception_fp_denorm_src 0
		.amdhsa_exception_fp_ieee_div_zero 0
		.amdhsa_exception_fp_ieee_overflow 0
		.amdhsa_exception_fp_ieee_underflow 0
		.amdhsa_exception_fp_ieee_inexact 0
		.amdhsa_exception_int_div_zero 0
	.end_amdhsa_kernel
	.section	.text._ZN9rocsolver6v33100L22stebz_splitting_kernelIfPfEEv15rocblas_erange_iT_S4_iiT0_iiS5_iiPiPS4_lS6_lS6_S7_S7_S7_S7_S6_S4_S4_,"axG",@progbits,_ZN9rocsolver6v33100L22stebz_splitting_kernelIfPfEEv15rocblas_erange_iT_S4_iiT0_iiS5_iiPiPS4_lS6_lS6_S7_S7_S7_S7_S6_S4_S4_,comdat
.Lfunc_end2:
	.size	_ZN9rocsolver6v33100L22stebz_splitting_kernelIfPfEEv15rocblas_erange_iT_S4_iiT0_iiS5_iiPiPS4_lS6_lS6_S7_S7_S7_S7_S6_S4_S4_, .Lfunc_end2-_ZN9rocsolver6v33100L22stebz_splitting_kernelIfPfEEv15rocblas_erange_iT_S4_iiT0_iiS5_iiPiPS4_lS6_lS6_S7_S7_S7_S7_S6_S4_S4_
                                        ; -- End function
	.set _ZN9rocsolver6v33100L22stebz_splitting_kernelIfPfEEv15rocblas_erange_iT_S4_iiT0_iiS5_iiPiPS4_lS6_lS6_S7_S7_S7_S7_S6_S4_S4_.num_vgpr, 44
	.set _ZN9rocsolver6v33100L22stebz_splitting_kernelIfPfEEv15rocblas_erange_iT_S4_iiT0_iiS5_iiPiPS4_lS6_lS6_S7_S7_S7_S7_S6_S4_S4_.num_agpr, 0
	.set _ZN9rocsolver6v33100L22stebz_splitting_kernelIfPfEEv15rocblas_erange_iT_S4_iiT0_iiS5_iiPiPS4_lS6_lS6_S7_S7_S7_S7_S6_S4_S4_.numbered_sgpr, 56
	.set _ZN9rocsolver6v33100L22stebz_splitting_kernelIfPfEEv15rocblas_erange_iT_S4_iiT0_iiS5_iiPiPS4_lS6_lS6_S7_S7_S7_S7_S6_S4_S4_.num_named_barrier, 0
	.set _ZN9rocsolver6v33100L22stebz_splitting_kernelIfPfEEv15rocblas_erange_iT_S4_iiT0_iiS5_iiPiPS4_lS6_lS6_S7_S7_S7_S7_S6_S4_S4_.private_seg_size, 0
	.set _ZN9rocsolver6v33100L22stebz_splitting_kernelIfPfEEv15rocblas_erange_iT_S4_iiT0_iiS5_iiPiPS4_lS6_lS6_S7_S7_S7_S7_S6_S4_S4_.uses_vcc, 1
	.set _ZN9rocsolver6v33100L22stebz_splitting_kernelIfPfEEv15rocblas_erange_iT_S4_iiT0_iiS5_iiPiPS4_lS6_lS6_S7_S7_S7_S7_S6_S4_S4_.uses_flat_scratch, 0
	.set _ZN9rocsolver6v33100L22stebz_splitting_kernelIfPfEEv15rocblas_erange_iT_S4_iiT0_iiS5_iiPiPS4_lS6_lS6_S7_S7_S7_S7_S6_S4_S4_.has_dyn_sized_stack, 0
	.set _ZN9rocsolver6v33100L22stebz_splitting_kernelIfPfEEv15rocblas_erange_iT_S4_iiT0_iiS5_iiPiPS4_lS6_lS6_S7_S7_S7_S7_S6_S4_S4_.has_recursion, 0
	.set _ZN9rocsolver6v33100L22stebz_splitting_kernelIfPfEEv15rocblas_erange_iT_S4_iiT0_iiS5_iiPiPS4_lS6_lS6_S7_S7_S7_S7_S6_S4_S4_.has_indirect_call, 0
	.section	.AMDGPU.csdata,"",@progbits
; Kernel info:
; codeLenInByte = 6000
; TotalNumSgprs: 62
; NumVgprs: 44
; NumAgprs: 0
; TotalNumVgprs: 44
; ScratchSize: 0
; MemoryBound: 0
; FloatMode: 240
; IeeeMode: 1
; LDSByteSize: 2048 bytes/workgroup (compile time only)
; SGPRBlocks: 7
; VGPRBlocks: 5
; NumSGPRsForWavesPerEU: 62
; NumVGPRsForWavesPerEU: 44
; AccumOffset: 44
; Occupancy: 8
; WaveLimiterHint : 1
; COMPUTE_PGM_RSRC2:SCRATCH_EN: 0
; COMPUTE_PGM_RSRC2:USER_SGPR: 2
; COMPUTE_PGM_RSRC2:TRAP_HANDLER: 0
; COMPUTE_PGM_RSRC2:TGID_X_EN: 1
; COMPUTE_PGM_RSRC2:TGID_Y_EN: 1
; COMPUTE_PGM_RSRC2:TGID_Z_EN: 0
; COMPUTE_PGM_RSRC2:TIDIG_COMP_CNT: 0
; COMPUTE_PGM_RSRC3_GFX90A:ACCUM_OFFSET: 10
; COMPUTE_PGM_RSRC3_GFX90A:TG_SPLIT: 0
	.section	.text._ZN9rocsolver6v33100L22stebz_bisection_kernelIfPfEEv15rocblas_erange_iT_T0_iiS5_iiPiPS4_lS6_lS6_lS6_S6_S7_S7_S7_S7_S6_S4_S4_,"axG",@progbits,_ZN9rocsolver6v33100L22stebz_bisection_kernelIfPfEEv15rocblas_erange_iT_T0_iiS5_iiPiPS4_lS6_lS6_lS6_S6_S7_S7_S7_S7_S6_S4_S4_,comdat
	.globl	_ZN9rocsolver6v33100L22stebz_bisection_kernelIfPfEEv15rocblas_erange_iT_T0_iiS5_iiPiPS4_lS6_lS6_lS6_S6_S7_S7_S7_S7_S6_S4_S4_ ; -- Begin function _ZN9rocsolver6v33100L22stebz_bisection_kernelIfPfEEv15rocblas_erange_iT_T0_iiS5_iiPiPS4_lS6_lS6_lS6_S6_S7_S7_S7_S7_S6_S4_S4_
	.p2align	8
	.type	_ZN9rocsolver6v33100L22stebz_bisection_kernelIfPfEEv15rocblas_erange_iT_T0_iiS5_iiPiPS4_lS6_lS6_lS6_S6_S7_S7_S7_S7_S6_S4_S4_,@function
_ZN9rocsolver6v33100L22stebz_bisection_kernelIfPfEEv15rocblas_erange_iT_T0_iiS5_iiPiPS4_lS6_lS6_lS6_S6_S7_S7_S7_S7_S6_S4_S4_: ; @_ZN9rocsolver6v33100L22stebz_bisection_kernelIfPfEEv15rocblas_erange_iT_T0_iiS5_iiPiPS4_lS6_lS6_lS6_S6_S7_S7_S7_S7_S6_S4_S4_
; %bb.0:
	s_load_dwordx16 s[4:19], s[0:1], 0x30
	s_mov_b32 s34, s3
	s_ashr_i32 s35, s3, 31
	s_lshl_b64 s[56:57], s[34:35], 2
	s_waitcnt lgkmcnt(0)
	s_add_u32 s4, s4, s56
	s_addc_u32 s5, s5, s57
	s_load_dword s33, s[4:5], 0x0
	s_waitcnt lgkmcnt(0)
	s_cmp_ge_i32 s2, s33
	s_cbranch_scc1 .LBB3_96
; %bb.1:
	s_load_dwordx8 s[20:27], s[0:1], 0x0
	s_load_dwordx4 s[28:31], s[0:1], 0x20
	s_load_dwordx8 s[36:43], s[0:1], 0x70
	s_load_dwordx4 s[44:47], s[0:1], 0x90
	s_waitcnt lgkmcnt(0)
	s_load_dword s23, s[0:1], 0xa0
	s_mul_hi_i32 s5, s27, s34
	s_mul_i32 s4, s27, s34
                                        ; kill: killed $sgpr0_sgpr1
	s_ashr_i32 s1, s26, 31
	s_lshl_b64 s[48:49], s[4:5], 2
	s_mov_b32 s0, s26
	s_add_u32 s3, s24, s48
	s_addc_u32 s4, s25, s49
	s_lshl_b64 s[50:51], s[0:1], 2
	s_add_u32 s58, s3, s50
	s_addc_u32 s59, s4, s51
	s_mul_hi_i32 s5, s31, s34
	s_mul_i32 s4, s31, s34
	s_ashr_i32 s1, s30, 31
	s_lshl_b64 s[52:53], s[4:5], 2
	s_mov_b32 s0, s30
	s_add_u32 s3, s28, s52
	s_addc_u32 s4, s29, s53
	s_lshl_b64 s[54:55], s[0:1], 2
	s_add_u32 s60, s3, s54
	s_mul_i32 s0, s8, s35
	s_mul_hi_u32 s1, s8, s34
	s_addc_u32 s61, s4, s55
	s_add_i32 s0, s1, s0
	s_mul_i32 s1, s9, s34
	s_add_i32 s1, s0, s1
	s_mul_i32 s0, s8, s34
	s_lshl_b64 s[0:1], s[0:1], 2
	s_add_u32 s62, s6, s0
	s_addc_u32 s63, s7, s1
	s_mul_i32 s0, s12, s35
	s_mul_hi_u32 s1, s12, s34
	s_add_i32 s0, s1, s0
	s_mul_i32 s1, s13, s34
	s_add_i32 s1, s0, s1
	s_mul_i32 s0, s12, s34
	s_lshl_b64 s[0:1], s[0:1], 2
	s_add_u32 s64, s10, s0
	s_addc_u32 s65, s11, s1
	s_mul_i32 s0, s16, s35
	s_mul_hi_u32 s1, s16, s34
	s_add_i32 s0, s1, s0
	s_mul_i32 s1, s17, s34
	s_add_i32 s1, s0, s1
	s_mul_i32 s0, s16, s34
	s_lshl_b64 s[0:1], s[0:1], 2
	s_add_u32 s66, s14, s0
	s_addc_u32 s67, s15, s1
	s_add_i32 s0, s21, -1
	s_mul_i32 s0, s0, s34
	s_ashr_i32 s1, s0, 31
	s_lshl_b64 s[0:1], s[0:1], 2
	s_add_u32 s68, s40, s0
	s_addc_u32 s69, s41, s1
	s_lshl_b32 s0, s34, 1
	s_ashr_i32 s1, s0, 31
	s_lshl_b64 s[0:1], s[0:1], 2
	s_add_u32 s16, s42, s0
	s_addc_u32 s17, s43, s1
	s_add_u32 s0, s38, s56
	s_addc_u32 s1, s39, s57
	s_load_dword s26, s[0:1], 0x0
	s_add_u32 s18, s18, s56
	s_mul_i32 s0, s21, s34
	s_addc_u32 s19, s19, s57
	s_lshl_b32 s4, s0, 2
	s_ashr_i32 s5, s4, 31
	s_lshl_b64 s[4:5], s[4:5], 2
	s_add_u32 s30, s44, s4
	s_addc_u32 s31, s45, s5
	s_add_u32 s34, s46, s4
	s_addc_u32 s35, s47, s5
	s_ashr_i32 s1, s0, 31
	s_lshl_b64 s[0:1], s[0:1], 2
	s_add_u32 s56, s36, s0
	s_addc_u32 s57, s37, s1
	v_mov_b32_e32 v2, 0x800000
	s_cmpk_lg_i32 s20, 0xe7
	s_waitcnt lgkmcnt(0)
	v_cmp_lt_f32_e32 vcc, s26, v2
	s_cselect_b64 s[36:37], -1, 0
	s_and_b64 s[6:7], vcc, exec
	s_cselect_b32 s3, 32, 0
	v_mov_b32_e32 v3, s3
	s_add_u32 s3, s48, s50
	v_ldexp_f32 v3, s26, v3
	s_addc_u32 s12, s49, s51
	v_log_f32_e32 v3, v3
	s_add_u32 s3, s24, s3
	s_addc_u32 s12, s25, s12
	s_add_u32 s72, s3, 4
	s_addc_u32 s73, s12, 0
	s_mov_b32 s70, 0x3f317217
	v_mul_f32_e32 v4, 0x3f317217, v3
	s_add_u32 s3, s52, s54
	v_fma_f32 v4, v3, s70, -v4
	s_addc_u32 s12, s53, s55
	v_mov_b32_e32 v1, 0x41b17218
	v_fmac_f32_e32 v4, 0x3377d1cf, v3
	s_mov_b32 s71, 0x7f800000
	s_add_u32 s3, s28, s3
	v_cndmask_b32_e32 v2, 0, v1, vcc
	v_fmac_f32_e32 v4, 0x3f317217, v3
	v_cmp_lt_f32_e64 vcc, |v3|, s71
	s_addc_u32 s12, s29, s12
	v_mov_b32_e32 v13, 0x1000
	v_cndmask_b32_e32 v3, v3, v4, vcc
	v_lshlrev_b32_e32 v15, 4, v0
	v_and_b32_e32 v18, 0x7c, v0
	s_add_u32 s54, s3, 4
	s_mov_b32 s24, 0xfefa39ef
	v_cmp_lt_f32_e64 s[0:1], s22, 0
	v_cmp_eq_u32_e64 s[4:5], 0, v0
	v_cmp_ne_u32_e64 s[6:7], 0, v0
	s_mov_b32 s20, 0x800000
	v_sub_f32_e32 v12, v3, v2
	v_lshl_or_b32 v14, v0, 2, v13
	v_or_b32_e32 v16, 0x800, v15
	v_add_f32_e64 v17, s23, s23
	s_mov_b32 s27, s26
	v_cmp_lt_u32_e64 s[8:9], 3, v0
	v_cmp_ne_u32_e64 s[10:11], v0, v18
	s_addc_u32 s55, s12, 0
	v_mov_b32_e32 v19, 0
	s_mov_b32 s25, 0x3fe62e42
	v_mov_b32_e32 v20, 1
                                        ; implicit-def: $sgpr74
                                        ; implicit-def: $sgpr75
                                        ; implicit-def: $sgpr76
                                        ; implicit-def: $sgpr77
                                        ; implicit-def: $vgpr22
	s_branch .LBB3_4
.LBB3_2:                                ;   in Loop: Header=BB3_4 Depth=1
	s_or_b64 exec, exec, s[12:13]
	v_mov_b32_e32 v5, v22
	s_mov_b32 s79, s77
	s_mov_b32 s3, s76
	;; [unrolled: 1-line block ×4, first 2 shown]
.LBB3_3:                                ;   in Loop: Header=BB3_4 Depth=1
	s_add_i32 s2, s2, 64
	s_cmp_lt_i32 s2, s33
	s_mov_b32 s74, s78
	s_mov_b32 s75, s80
	;; [unrolled: 1-line block ×4, first 2 shown]
	v_mov_b32_e32 v22, v5
	s_barrier
	s_cbranch_scc0 .LBB3_96
.LBB3_4:                                ; =>This Loop Header: Depth=1
                                        ;     Child Loop BB3_9 Depth 2
                                        ;     Child Loop BB3_20 Depth 2
	;; [unrolled: 1-line block ×4, first 2 shown]
                                        ;       Child Loop BB3_37 Depth 3
                                        ;         Child Loop BB3_40 Depth 4
                                        ;         Child Loop BB3_54 Depth 4
                                        ;         Child Loop BB3_58 Depth 4
                                        ;     Child Loop BB3_75 Depth 2
                                        ;       Child Loop BB3_78 Depth 3
                                        ;       Child Loop BB3_82 Depth 3
	s_ashr_i32 s3, s2, 31
	s_cmp_eq_u32 s2, 0
	s_mov_b32 s38, 0
	s_cbranch_scc1 .LBB3_6
; %bb.5:                                ;   in Loop: Header=BB3_4 Depth=1
	s_lshl_b64 s[12:13], s[2:3], 2
	s_add_u32 s12, s66, s12
	s_addc_u32 s13, s67, s13
	global_load_dword v2, v19, s[12:13] offset:-4
	s_waitcnt vmcnt(0)
	v_readfirstlane_b32 s38, v2
.LBB3_6:                                ;   in Loop: Header=BB3_4 Depth=1
	s_lshl_b64 s[28:29], s[2:3], 2
	s_add_u32 s12, s66, s28
	s_addc_u32 s13, s67, s29
	global_load_dword v2, v19, s[12:13]
	s_waitcnt vmcnt(0)
	v_readfirstlane_b32 s80, v2
	s_sub_i32 s14, s80, s38
	s_cmp_lg_u32 s14, 1
	s_cbranch_scc0 .LBB3_69
; %bb.7:                                ;   in Loop: Header=BB3_4 Depth=1
	s_ashr_i32 s39, s38, 31
	s_lshl_b64 s[42:43], s[38:39], 2
	s_add_u32 s40, s58, s42
	s_addc_u32 s41, s59, s43
	s_add_u32 s12, s60, s42
	s_addc_u32 s13, s61, s43
	global_load_dword v2, v19, s[12:13]
	global_load_dword v7, v19, s[40:41]
	s_cmp_lt_i32 s14, 3
	s_waitcnt vmcnt(1)
	v_and_b32_e32 v4, 0x7fffffff, v2
	s_waitcnt vmcnt(0)
	v_sub_f32_e64 v3, v7, |v2|
	v_add_f32_e64 v2, v7, |v2|
	s_cbranch_scc1 .LBB3_10
; %bb.8:                                ;   in Loop: Header=BB3_4 Depth=1
	s_add_i32 s3, s14, -2
	s_add_u32 s12, s72, s42
	s_addc_u32 s13, s73, s43
	s_add_u32 s44, s54, s42
	s_addc_u32 s45, s55, s43
.LBB3_9:                                ;   Parent Loop BB3_4 Depth=1
                                        ; =>  This Inner Loop Header: Depth=2
	global_load_dword v5, v19, s[12:13]
	global_load_dword v6, v19, s[44:45]
	v_mov_b32_e32 v8, v4
	s_add_i32 s3, s3, -1
	s_add_u32 s12, s12, 4
	s_addc_u32 s13, s13, 0
	s_add_u32 s44, s44, 4
	s_addc_u32 s45, s45, 0
	s_cmp_lg_u32 s3, 0
	s_waitcnt vmcnt(1)
	v_sub_f32_e32 v9, v5, v8
	v_add_f32_e32 v5, v8, v5
	s_waitcnt vmcnt(0)
	v_sub_f32_e64 v8, v9, |v6|
	v_add_f32_e64 v5, v5, |v6|
	v_cmp_lt_f32_e32 vcc, v8, v3
	v_and_b32_e32 v4, 0x7fffffff, v6
	s_nop 0
	v_cndmask_b32_e32 v3, v3, v8, vcc
	v_cmp_lt_f32_e32 vcc, v2, v5
	s_nop 1
	v_cndmask_b32_e32 v2, v2, v5, vcc
	s_cbranch_scc1 .LBB3_9
.LBB3_10:                               ;   in Loop: Header=BB3_4 Depth=1
	s_ashr_i32 s15, s14, 31
	s_lshl_b64 s[12:13], s[14:15], 2
	s_add_u32 s12, s40, s12
	s_addc_u32 s13, s41, s13
	global_load_dword v5, v19, s[12:13] offset:-4
	v_cvt_f32_i32_e32 v8, s14
	s_waitcnt vmcnt(0)
	v_sub_f32_e32 v6, v5, v4
	v_add_f32_e32 v4, v4, v5
	v_cmp_lt_f32_e32 vcc, v6, v3
	s_nop 1
	v_cndmask_b32_e32 v3, v3, v6, vcc
	v_cmp_lt_f32_e32 vcc, v2, v4
	s_nop 1
	v_cndmask_b32_e32 v5, v2, v4, vcc
	v_cmp_lt_f32_e64 vcc, |v3|, |v5|
	s_nop 1
	v_cndmask_b32_e32 v2, v3, v5, vcc
	v_mul_f32_e64 v6, s23, |v2|
	v_fma_f32 v4, -v6, v8, v3
	v_fmac_f32_e32 v5, v6, v8
	v_pk_add_f32 v[2:3], v[4:5], s[26:27] neg_lo:[0,1] neg_hi:[0,1]
	v_pk_add_f32 v[4:5], v[4:5], s[26:27]
	s_andn2_b64 vcc, exec, s[36:37]
	v_mov_b32_e32 v3, v5
	s_cbranch_vccnz .LBB3_12
; %bb.11:                               ;   in Loop: Header=BB3_4 Depth=1
	global_load_dwordx2 v[8:9], v19, s[16:17]
	s_waitcnt vmcnt(0)
	v_cmp_lt_f32_e32 vcc, v2, v8
	s_nop 1
	v_cndmask_b32_e32 v2, v2, v8, vcc
	v_cmp_lt_f32_e32 vcc, v9, v5
	s_nop 1
	v_cndmask_b32_e32 v3, v5, v9, vcc
.LBB3_12:                               ;   in Loop: Header=BB3_4 Depth=1
	v_cmp_nlt_f32_e32 vcc, v2, v3
	s_mov_b64 s[12:13], -1
	s_cbranch_vccz .LBB3_16
; %bb.13:                               ;   in Loop: Header=BB3_4 Depth=1
	s_and_saveexec_b64 s[12:13], s[4:5]
	s_cbranch_execz .LBB3_15
; %bb.14:                               ;   in Loop: Header=BB3_4 Depth=1
	s_add_u32 s44, s56, s28
	s_addc_u32 s45, s57, s29
	ds_write_b16 v19, v19 offset:4612
	global_store_dword v19, v19, s[44:45]
.LBB3_15:                               ;   in Loop: Header=BB3_4 Depth=1
	s_or_b64 exec, exec, s[12:13]
	s_mov_b64 s[12:13], 0
.LBB3_16:                               ;   in Loop: Header=BB3_4 Depth=1
	s_andn2_b64 vcc, exec, s[12:13]
	v_mov_b32_e32 v5, v22
	s_mov_b32 s79, s77
	s_mov_b32 s3, s76
	;; [unrolled: 1-line block ×3, first 2 shown]
	s_cbranch_vccnz .LBB3_29
; %bb.17:                               ;   in Loop: Header=BB3_4 Depth=1
	v_sub_f32_e32 v4, v3, v2
	v_add_f32_e32 v4, s26, v4
	v_cmp_gt_f32_e32 vcc, s20, v4
	s_and_b64 s[12:13], vcc, exec
	s_cselect_b32 s3, 32, 0
	v_ldexp_f32 v4, v4, s3
	v_log_f32_e32 v4, v4
	v_cndmask_b32_e32 v5, 0, v1, vcc
	v_mul_f32_e32 v8, 0x3f317217, v4
	v_fma_f32 v8, v4, s70, -v8
	v_fmac_f32_e32 v8, 0x3377d1cf, v4
	v_fmac_f32_e32 v8, 0x3f317217, v4
	v_cmp_lt_f32_e64 vcc, |v4|, s71
	s_nop 1
	v_cndmask_b32_e32 v4, v4, v8, vcc
	v_sub_f32_e32 v4, v4, v5
	v_sub_f32_e32 v4, v4, v12
	v_cvt_f64_f32_e32 v[4:5], v4
	v_div_scale_f64 v[8:9], s[12:13], s[24:25], s[24:25], v[4:5]
	v_rcp_f64_e32 v[10:11], v[8:9]
	v_div_scale_f64 v[24:25], vcc, v[4:5], s[24:25], v[4:5]
	v_fma_f64 v[26:27], -v[8:9], v[10:11], 1.0
	v_fmac_f64_e32 v[10:11], v[10:11], v[26:27]
	v_fma_f64 v[26:27], -v[8:9], v[10:11], 1.0
	v_fmac_f64_e32 v[10:11], v[10:11], v[26:27]
	v_mul_f64 v[26:27], v[24:25], v[10:11]
	v_fma_f64 v[8:9], -v[8:9], v[26:27], v[24:25]
	v_div_fmas_f64 v[8:9], v[8:9], v[10:11], v[26:27]
	v_div_fixup_f64 v[4:5], v[8:9], s[24:25], v[4:5]
	v_cvt_i32_f64_e32 v4, v[4:5]
	v_mov_b32_e32 v5, v22
	v_readfirstlane_b32 s3, v4
	s_and_saveexec_b64 s[44:45], s[4:5]
	s_cbranch_execz .LBB3_28
; %bb.18:                               ;   in Loop: Header=BB3_4 Depth=1
	s_add_u32 s46, s68, s42
	s_addc_u32 s47, s69, s43
	v_sub_f32_e32 v5, v7, v2
	s_cmp_gt_i32 s14, 1
	v_cmp_ge_f32_e32 vcc, s26, v5
	s_cselect_b64 s[48:49], -1, 0
	s_cmp_lt_i32 s14, 2
	v_cndmask_b32_e64 v4, 0, 1, vcc
	ds_write_b8 v19, v19 offset:4613
	s_cbranch_scc1 .LBB3_21
; %bb.19:                               ;   in Loop: Header=BB3_4 Depth=1
	v_cmp_gt_f32_e64 s[12:13], v5, -s26
	v_mov_b32_e32 v8, s26
	s_and_b64 s[12:13], vcc, s[12:13]
	v_cndmask_b32_e64 v5, v5, -v8, s[12:13]
	s_not_b32 s12, s38
	s_add_i32 s15, s12, s80
	s_add_u32 s50, s72, s42
	s_addc_u32 s51, s73, s43
	s_mov_b64 s[52:53], s[46:47]
.LBB3_20:                               ;   Parent Loop BB3_4 Depth=1
                                        ; =>  This Inner Loop Header: Depth=2
	global_load_dword v8, v19, s[50:51]
	global_load_dword v9, v19, s[52:53]
	s_add_i32 s15, s15, -1
	v_mov_b32_e32 v10, s26
	s_waitcnt vmcnt(1)
	v_sub_f32_e32 v8, v8, v2
	s_waitcnt vmcnt(0)
	v_div_scale_f32 v11, s[12:13], v5, v5, v9
	v_rcp_f32_e32 v23, v11
	v_div_scale_f32 v21, vcc, v9, v5, v9
	v_fma_f32 v24, -v11, v23, 1.0
	v_fmac_f32_e32 v23, v24, v23
	v_mul_f32_e32 v24, v21, v23
	v_fma_f32 v25, -v11, v24, v21
	v_fmac_f32_e32 v24, v25, v23
	v_fma_f32 v11, -v11, v24, v21
	v_div_fmas_f32 v11, v11, v23, v24
	v_div_fixup_f32 v5, v11, v5, v9
	v_sub_f32_e32 v5, v8, v5
	v_cmp_ge_f32_e32 vcc, s26, v5
	v_cmp_gt_f32_e64 s[78:79], v5, -s26
	s_nop 0
	v_addc_co_u32_e64 v4, s[12:13], 0, v4, vcc
	s_and_b64 s[12:13], vcc, s[78:79]
	s_add_u32 s50, s50, 4
	s_addc_u32 s51, s51, 0
	s_add_u32 s52, s52, 4
	s_addc_u32 s53, s53, 0
	s_cmp_lg_u32 s15, 0
	v_cndmask_b32_e64 v5, v5, -v10, s[12:13]
	s_cbranch_scc1 .LBB3_20
.LBB3_21:                               ;   in Loop: Header=BB3_4 Depth=1
	v_sub_f32_e32 v7, v7, v3
	v_cmp_ge_f32_e64 s[12:13], s26, v7
	s_andn2_b64 vcc, exec, s[48:49]
	s_nop 0
	v_cndmask_b32_e64 v5, 0, 1, s[12:13]
	s_cbranch_vccnz .LBB3_24
; %bb.22:                               ;   in Loop: Header=BB3_4 Depth=1
	v_cmp_gt_f32_e64 s[48:49], v7, -s26
	v_mov_b32_e32 v8, s26
	s_and_b64 s[12:13], s[12:13], s[48:49]
	v_cndmask_b32_e64 v7, v7, -v8, s[12:13]
	s_not_b32 s12, s38
	s_add_i32 s15, s12, s80
	s_add_u32 s48, s72, s42
	s_addc_u32 s49, s73, s43
.LBB3_23:                               ;   Parent Loop BB3_4 Depth=1
                                        ; =>  This Inner Loop Header: Depth=2
	global_load_dword v8, v19, s[48:49]
	global_load_dword v9, v19, s[46:47]
	s_add_i32 s15, s15, -1
	v_mov_b32_e32 v10, s26
	s_waitcnt vmcnt(1)
	v_sub_f32_e32 v8, v8, v3
	s_waitcnt vmcnt(0)
	v_div_scale_f32 v11, s[12:13], v7, v7, v9
	v_rcp_f32_e32 v23, v11
	v_div_scale_f32 v21, vcc, v9, v7, v9
	v_fma_f32 v24, -v11, v23, 1.0
	v_fmac_f32_e32 v23, v24, v23
	v_mul_f32_e32 v24, v21, v23
	v_fma_f32 v25, -v11, v24, v21
	v_fmac_f32_e32 v24, v25, v23
	v_fma_f32 v11, -v11, v24, v21
	v_div_fmas_f32 v11, v11, v23, v24
	v_div_fixup_f32 v7, v11, v7, v9
	v_sub_f32_e32 v7, v8, v7
	v_cmp_ge_f32_e32 vcc, s26, v7
	v_cmp_gt_f32_e64 s[50:51], v7, -s26
	s_nop 0
	v_addc_co_u32_e64 v5, s[12:13], 0, v5, vcc
	s_and_b64 s[12:13], vcc, s[50:51]
	s_add_u32 s48, s48, 4
	s_addc_u32 s49, s49, 0
	s_add_u32 s46, s46, 4
	s_addc_u32 s47, s47, 0
	s_cmp_lg_u32 s15, 0
	v_cndmask_b32_e64 v7, v7, -v10, s[12:13]
	s_cbranch_scc1 .LBB3_23
.LBB3_24:                               ;   in Loop: Header=BB3_4 Depth=1
	v_sub_u32_e32 v7, v5, v4
	v_cmp_gt_i32_e32 vcc, 1, v7
	s_mov_b64 s[12:13], -1
	s_cbranch_vccz .LBB3_26
; %bb.25:                               ;   in Loop: Header=BB3_4 Depth=1
	s_add_u32 s12, s56, s28
	s_addc_u32 s13, s57, s29
	ds_write_b8 v19, v19 offset:4612
	global_store_dword v19, v19, s[12:13]
	s_mov_b64 s[12:13], 0
.LBB3_26:                               ;   in Loop: Header=BB3_4 Depth=1
	s_andn2_b64 vcc, exec, s[12:13]
	s_cbranch_vccnz .LBB3_28
; %bb.27:                               ;   in Loop: Header=BB3_4 Depth=1
	s_add_i32 s12, s38, s21
	s_lshl_b32 s12, s12, 1
	s_ashr_i32 s13, s12, 31
	s_lshl_b64 s[12:13], s[12:13], 2
	s_add_u32 s46, s30, s12
	s_addc_u32 s47, s31, s13
	global_store_dwordx2 v19, v[2:3], s[46:47]
	s_add_u32 s46, s56, s28
	s_addc_u32 s47, s57, s29
	s_add_u32 s12, s34, s12
	s_addc_u32 s13, s35, s13
	ds_write_b8 v19, v20 offset:4612
	global_store_dword v19, v7, s[46:47]
	global_store_dwordx2 v19, v[4:5], s[12:13]
.LBB3_28:                               ;   in Loop: Header=BB3_4 Depth=1
	s_or_b64 exec, exec, s[44:45]
	s_add_i32 s3, s3, 2
	s_mov_b32 s78, 0
	s_mov_b32 s79, 1
.LBB3_29:                               ;   in Loop: Header=BB3_4 Depth=1
	s_waitcnt lgkmcnt(0)
	s_barrier
	ds_read_u16 v2, v19 offset:4612
	s_waitcnt lgkmcnt(0)
	v_readfirstlane_b32 s12, v2
	s_bitcmp1_b32 s12, 0
	s_cselect_b64 s[48:49], -1, 0
	s_bitcmp1_b32 s12, 8
	s_cselect_b64 s[12:13], -1, 0
	s_xor_b64 s[44:45], s[12:13], -1
	s_and_b64 s[44:45], s[48:49], s[44:45]
	s_cmp_lt_i32 s78, s3
	s_cselect_b64 s[46:47], -1, 0
	s_and_b64 s[44:45], s[44:45], s[46:47]
	s_andn2_b64 vcc, exec, s[44:45]
	s_cbranch_vccnz .LBB3_70
; %bb.30:                               ;   in Loop: Header=BB3_4 Depth=1
	s_add_i32 s12, s38, s21
	s_lshl_b32 s81, s38, 1
	s_lshl_b32 s82, s12, 1
	s_add_u32 s44, s68, s42
	s_addc_u32 s45, s69, s43
	s_cmp_gt_i32 s14, 1
	v_mov_b32_e32 v2, s22
	s_cselect_b64 s[46:47], -1, 0
	s_not_b32 s83, s38
	v_cndmask_b32_e64 v2, v2, v6, s[0:1]
	s_add_i32 s83, s83, s80
	v_mov_b32_e32 v3, s26
	v_cmp_gt_f32_e32 vcc, s26, v2
	s_add_u32 s42, s72, s42
	s_addc_u32 s43, s73, s43
	v_cndmask_b32_e32 v21, v2, v3, vcc
	s_branch .LBB3_32
.LBB3_31:                               ;   in Loop: Header=BB3_32 Depth=2
	s_or_b64 exec, exec, s[12:13]
	s_waitcnt lgkmcnt(0)
	s_barrier
	ds_read_u16 v2, v19 offset:4612
	s_add_i32 s78, s78, 1
	s_waitcnt lgkmcnt(0)
	v_readfirstlane_b32 s12, v2
	s_bitcmp1_b32 s12, 0
	s_cselect_b64 s[48:49], -1, 0
	s_bitcmp1_b32 s12, 8
	s_cselect_b64 s[12:13], -1, 0
	s_xor_b64 s[14:15], s[12:13], -1
	s_and_b64 s[14:15], s[48:49], s[14:15]
	s_cmp_lt_i32 s78, s3
	s_cselect_b64 s[50:51], -1, 0
	s_and_b64 s[14:15], s[14:15], s[50:51]
	s_and_b64 vcc, exec, s[14:15]
	s_cbranch_vccz .LBB3_71
.LBB3_32:                               ;   Parent Loop BB3_4 Depth=1
                                        ; =>  This Loop Header: Depth=2
                                        ;       Child Loop BB3_37 Depth 3
                                        ;         Child Loop BB3_40 Depth 4
                                        ;         Child Loop BB3_54 Depth 4
	;; [unrolled: 1-line block ×3, first 2 shown]
	s_and_saveexec_b64 s[12:13], s[4:5]
; %bb.33:                               ;   in Loop: Header=BB3_32 Depth=2
	ds_write_b32 v19, v19 offset:4608
; %bb.34:                               ;   in Loop: Header=BB3_32 Depth=2
	s_or_b64 exec, exec, s[12:13]
	s_bitcmp0_b32 s78, 0
	s_cselect_b64 s[12:13], -1, 0
	s_and_b64 s[14:15], s[12:13], exec
	s_cselect_b32 s80, s81, s82
	s_cmp_lt_i32 s79, 1
	s_cbranch_scc1 .LBB3_66
; %bb.35:                               ;   in Loop: Header=BB3_32 Depth=2
	s_and_b64 s[12:13], s[12:13], exec
	s_cselect_b32 s84, s82, s81
	s_mov_b32 s85, 0
	s_branch .LBB3_37
.LBB3_36:                               ;   in Loop: Header=BB3_37 Depth=3
	s_or_b64 exec, exec, s[12:13]
	s_addk_i32 s85, 0x80
	s_cmp_ge_i32 s85, s79
	s_waitcnt lgkmcnt(0)
	s_barrier
	s_cbranch_scc1 .LBB3_66
.LBB3_37:                               ;   Parent Loop BB3_4 Depth=1
                                        ;     Parent Loop BB3_32 Depth=2
                                        ; =>    This Loop Header: Depth=3
                                        ;         Child Loop BB3_40 Depth 4
                                        ;         Child Loop BB3_54 Depth 4
	;; [unrolled: 1-line block ×3, first 2 shown]
	v_add_u32_e32 v2, s85, v0
	v_cmp_gt_i32_e64 s[12:13], s79, v2
	s_and_saveexec_b64 s[48:49], s[12:13]
	s_cbranch_execz .LBB3_50
; %bb.38:                               ;   in Loop: Header=BB3_37 Depth=3
	v_lshl_add_u32 v2, v2, 1, s84
	v_ashrrev_i32_e32 v3, 31, v2
	v_lshlrev_b64 v[4:5], 2, v[2:3]
	v_lshl_add_u64 v[2:3], s[30:31], 0, v[4:5]
	global_load_dwordx2 v[10:11], v[2:3], off
	s_nop 0
	global_load_dword v3, v19, s[40:41]
	v_lshl_add_u64 v[4:5], s[34:35], 0, v[4:5]
	global_load_dwordx2 v[4:5], v[4:5], off
	s_andn2_b64 vcc, exec, s[46:47]
	s_waitcnt vmcnt(2)
	v_add_f32_e32 v2, v10, v11
	s_waitcnt vmcnt(1)
	v_fmac_f32_e32 v3, -0.5, v2
	v_cmp_ge_f32_e64 s[14:15], s26, v3
	v_mul_f32_e32 v8, 0.5, v2
	s_nop 0
	v_cndmask_b32_e64 v2, 0, 1, s[14:15]
	s_cbranch_vccnz .LBB3_41
; %bb.39:                               ;   in Loop: Header=BB3_37 Depth=3
	v_cmp_gt_f32_e64 s[50:51], v3, -s26
	v_mov_b32_e32 v6, s26
	s_and_b64 s[14:15], s[14:15], s[50:51]
	v_cndmask_b32_e64 v3, v3, -v6, s[14:15]
	s_mov_b64 s[50:51], s[44:45]
	s_mov_b64 s[52:53], s[42:43]
	s_mov_b32 s86, s83
.LBB3_40:                               ;   Parent Loop BB3_4 Depth=1
                                        ;     Parent Loop BB3_32 Depth=2
                                        ;       Parent Loop BB3_37 Depth=3
                                        ; =>      This Inner Loop Header: Depth=4
	global_load_dword v6, v19, s[52:53]
	global_load_dword v7, v19, s[50:51]
	s_add_i32 s86, s86, -1
	v_mov_b32_e32 v9, s26
	s_waitcnt vmcnt(1)
	v_sub_f32_e32 v6, v6, v8
	s_waitcnt vmcnt(0)
	v_div_scale_f32 v23, s[14:15], v3, v3, v7
	v_rcp_f32_e32 v25, v23
	v_div_scale_f32 v24, vcc, v7, v3, v7
	v_fma_f32 v26, -v23, v25, 1.0
	v_fmac_f32_e32 v25, v26, v25
	v_mul_f32_e32 v26, v24, v25
	v_fma_f32 v27, -v23, v26, v24
	v_fmac_f32_e32 v26, v27, v25
	v_fma_f32 v23, -v23, v26, v24
	v_div_fmas_f32 v23, v23, v25, v26
	v_div_fixup_f32 v3, v23, v3, v7
	v_sub_f32_e32 v3, v6, v3
	v_cmp_ge_f32_e32 vcc, s26, v3
	v_cmp_gt_f32_e64 s[88:89], v3, -s26
	s_nop 0
	v_addc_co_u32_e64 v2, s[14:15], 0, v2, vcc
	s_and_b64 s[14:15], vcc, s[88:89]
	s_add_u32 s52, s52, 4
	s_addc_u32 s53, s53, 0
	s_add_u32 s50, s50, 4
	s_addc_u32 s51, s51, 0
	s_cmp_lg_u32 s86, 0
	v_cndmask_b32_e64 v3, v3, -v9, s[14:15]
	s_cbranch_scc1 .LBB3_40
.LBB3_41:                               ;   in Loop: Header=BB3_37 Depth=3
	s_waitcnt vmcnt(0)
	v_max_i32_e32 v2, v2, v4
	v_min_i32_e32 v3, v2, v5
	v_cmp_ne_u32_e32 vcc, v3, v4
	s_and_saveexec_b64 s[14:15], vcc
	s_xor_b64 s[14:15], exec, s[14:15]
	s_cbranch_execz .LBB3_47
; %bb.42:                               ;   in Loop: Header=BB3_37 Depth=3
	v_cmp_le_i32_e32 vcc, v5, v2
	s_and_saveexec_b64 s[50:51], vcc
	s_xor_b64 s[50:51], exec, s[50:51]
	s_cbranch_execz .LBB3_44
; %bb.43:                               ;   in Loop: Header=BB3_37 Depth=3
	v_mov_b32_e32 v11, v8
	v_mov_b32_e32 v2, v4
	ds_write_b32 v14, v19
	ds_write_b64 v15, v[10:11]
	ds_write_b64 v16, v[2:3]
                                        ; implicit-def: $vgpr10_vgpr11
                                        ; implicit-def: $vgpr8
.LBB3_44:                               ;   in Loop: Header=BB3_37 Depth=3
	s_andn2_saveexec_b64 s[50:51], s[50:51]
	s_cbranch_execz .LBB3_46
; %bb.45:                               ;   in Loop: Header=BB3_37 Depth=3
	v_mov_b32_e32 v6, v10
	v_mov_b32_e32 v7, v8
	;; [unrolled: 1-line block ×5, first 2 shown]
	ds_write_b32 v14, v20
	ds_write_b128 v15, v[6:9]
	ds_write_b128 v16, v[2:5]
.LBB3_46:                               ;   in Loop: Header=BB3_37 Depth=3
	s_or_b64 exec, exec, s[50:51]
                                        ; implicit-def: $vgpr8
                                        ; implicit-def: $vgpr10_vgpr11
.LBB3_47:                               ;   in Loop: Header=BB3_37 Depth=3
	s_andn2_saveexec_b64 s[14:15], s[14:15]
	s_cbranch_execz .LBB3_49
; %bb.48:                               ;   in Loop: Header=BB3_37 Depth=3
	v_mov_b32_e32 v9, v11
	ds_write_b32 v14, v19
	ds_write_b64 v15, v[8:9]
	ds_write_b64 v16, v[4:5]
.LBB3_49:                               ;   in Loop: Header=BB3_37 Depth=3
	s_or_b64 exec, exec, s[14:15]
.LBB3_50:                               ;   in Loop: Header=BB3_37 Depth=3
	s_or_b64 exec, exec, s[48:49]
	s_waitcnt lgkmcnt(0)
	s_barrier
	s_and_saveexec_b64 s[14:15], s[12:13]
	s_cbranch_execz .LBB3_64
; %bb.51:                               ;   in Loop: Header=BB3_37 Depth=3
	v_mov_b32_e32 v5, 0
	s_and_saveexec_b64 s[12:13], s[6:7]
	s_cbranch_execz .LBB3_61
; %bb.52:                               ;   in Loop: Header=BB3_37 Depth=3
	s_mov_b64 s[50:51], -1
	v_mov_b32_e32 v5, 0
	v_mov_b32_e32 v3, 0
	s_and_saveexec_b64 s[48:49], s[8:9]
	s_cbranch_execz .LBB3_56
; %bb.53:                               ;   in Loop: Header=BB3_37 Depth=3
	s_movk_i32 s52, 0x1000
	s_mov_b64 s[50:51], 0
	v_mov_b32_e32 v3, 0
	v_mov_b32_e32 v2, 0
	;; [unrolled: 1-line block ×5, first 2 shown]
.LBB3_54:                               ;   Parent Loop BB3_4 Depth=1
                                        ;     Parent Loop BB3_32 Depth=2
                                        ;       Parent Loop BB3_37 Depth=3
                                        ; =>      This Inner Loop Header: Depth=4
	v_mov_b32_e32 v7, s52
	ds_read_b128 v[8:11], v7
	v_add_u32_e32 v6, -4, v6
	s_add_i32 s52, s52, 16
	v_cmp_eq_u32_e32 vcc, 0, v6
	s_or_b64 s[50:51], vcc, s[50:51]
	s_waitcnt lgkmcnt(0)
	v_add_u32_e32 v3, v9, v3
	v_add_u32_e32 v2, v8, v2
	;; [unrolled: 1-line block ×4, first 2 shown]
	s_andn2_b64 exec, exec, s[50:51]
	s_cbranch_execnz .LBB3_54
; %bb.55:                               ;   in Loop: Header=BB3_37 Depth=3
	s_or_b64 exec, exec, s[50:51]
	v_add_u32_e32 v3, v5, v3
	v_add3_u32 v5, v4, v2, v3
	s_orn2_b64 s[50:51], s[10:11], exec
	v_mov_b32_e32 v3, v18
.LBB3_56:                               ;   in Loop: Header=BB3_37 Depth=3
	s_or_b64 exec, exec, s[48:49]
	s_and_saveexec_b64 s[48:49], s[50:51]
	s_cbranch_execz .LBB3_60
; %bb.57:                               ;   in Loop: Header=BB3_37 Depth=3
	v_sub_u32_e32 v2, v0, v3
	v_lshl_or_b32 v3, v3, 2, v13
	s_mov_b64 s[50:51], 0
.LBB3_58:                               ;   Parent Loop BB3_4 Depth=1
                                        ;     Parent Loop BB3_32 Depth=2
                                        ;       Parent Loop BB3_37 Depth=3
                                        ; =>      This Inner Loop Header: Depth=4
	ds_read_b32 v4, v3
	v_add_u32_e32 v2, -1, v2
	v_cmp_eq_u32_e32 vcc, 0, v2
	v_add_u32_e32 v3, 4, v3
	s_or_b64 s[50:51], vcc, s[50:51]
	s_waitcnt lgkmcnt(0)
	v_add_u32_e32 v5, v4, v5
	s_andn2_b64 exec, exec, s[50:51]
	s_cbranch_execnz .LBB3_58
; %bb.59:                               ;   in Loop: Header=BB3_37 Depth=3
	s_or_b64 exec, exec, s[50:51]
.LBB3_60:                               ;   in Loop: Header=BB3_37 Depth=3
	s_or_b64 exec, exec, s[48:49]
.LBB3_61:                               ;   in Loop: Header=BB3_37 Depth=3
	s_or_b64 exec, exec, s[12:13]
	ds_read_b32 v2, v19 offset:4608
	ds_read_b64 v[8:9], v15
	ds_read_b64 v[10:11], v16
	ds_read_b32 v4, v14
	s_waitcnt lgkmcnt(3)
	v_add3_u32 v2, v5, v0, v2
	v_lshl_add_u32 v2, v2, 1, s80
	v_ashrrev_i32_e32 v3, 31, v2
	v_lshlrev_b64 v[6:7], 2, v[2:3]
	v_lshl_add_u64 v[2:3], s[30:31], 0, v[6:7]
	v_lshl_add_u64 v[6:7], s[34:35], 0, v[6:7]
	s_waitcnt lgkmcnt(0)
	v_cmp_ne_u32_e32 vcc, 0, v4
	global_store_dwordx2 v[2:3], v[8:9], off
	global_store_dwordx2 v[6:7], v[10:11], off
	s_and_saveexec_b64 s[12:13], vcc
	s_cbranch_execz .LBB3_63
; %bb.62:                               ;   in Loop: Header=BB3_37 Depth=3
	ds_read_b64 v[8:9], v15 offset:8
	ds_read_b64 v[10:11], v16 offset:8
	s_waitcnt lgkmcnt(1)
	global_store_dwordx2 v[2:3], v[8:9], off offset:8
	s_waitcnt lgkmcnt(0)
	global_store_dwordx2 v[6:7], v[10:11], off offset:8
.LBB3_63:                               ;   in Loop: Header=BB3_37 Depth=3
	s_or_b64 exec, exec, s[12:13]
.LBB3_64:                               ;   in Loop: Header=BB3_37 Depth=3
	s_or_b64 exec, exec, s[14:15]
	s_sub_i32 s12, s79, s85
	s_min_i32 s14, s12, 0x80
	s_add_i32 s12, s14, -1
	v_cmp_eq_u32_e32 vcc, s12, v0
	s_barrier
	s_and_saveexec_b64 s[12:13], vcc
	s_cbranch_execz .LBB3_36
; %bb.65:                               ;   in Loop: Header=BB3_37 Depth=3
	ds_read_b32 v2, v14
	ds_read_b32 v3, v19 offset:4608
	v_add_u32_e32 v4, s14, v5
	s_waitcnt lgkmcnt(0)
	v_add3_u32 v2, v4, v2, v3
	ds_write_b32 v19, v2 offset:4608
	s_branch .LBB3_36
.LBB3_66:                               ;   in Loop: Header=BB3_32 Depth=2
	ds_read_b32 v2, v19 offset:4608
	s_waitcnt lgkmcnt(0)
	v_readfirstlane_b32 s79, v2
	s_and_saveexec_b64 s[12:13], s[4:5]
	s_cbranch_execz .LBB3_31
; %bb.67:                               ;   in Loop: Header=BB3_32 Depth=2
	ds_read_b64 v[2:3], v19
	s_waitcnt lgkmcnt(0)
	v_cmp_lt_f32_e64 vcc, |v2|, |v3|
	v_sub_f32_e32 v4, v3, v2
	s_nop 0
	v_cndmask_b32_e32 v2, v2, v3, vcc
	v_mul_f32_e64 v2, v17, |v2|
	v_cmp_lt_f32_e32 vcc, v21, v2
	s_nop 1
	v_cndmask_b32_e32 v2, v21, v2, vcc
	v_cmp_nlt_f32_e32 vcc, v4, v2
	s_cbranch_vccnz .LBB3_31
; %bb.68:                               ;   in Loop: Header=BB3_32 Depth=2
	ds_write_b8 v19, v20 offset:4613
	s_branch .LBB3_31
.LBB3_69:                               ;   in Loop: Header=BB3_4 Depth=1
                                        ; implicit-def: $sgpr78
                                        ; implicit-def: $sgpr80
                                        ; implicit-def: $sgpr3
                                        ; implicit-def: $sgpr79
                                        ; implicit-def: $vgpr5
	s_cbranch_execz .LBB3_3
	s_branch .LBB3_88
.LBB3_70:                               ;   in Loop: Header=BB3_4 Depth=1
	s_mov_b32 s80, s75
.LBB3_71:                               ;   in Loop: Header=BB3_4 Depth=1
	s_and_b64 s[40:41], s[4:5], s[48:49]
	s_and_saveexec_b64 s[14:15], s[40:41]
	s_cbranch_execz .LBB3_87
; %bb.72:                               ;   in Loop: Header=BB3_4 Depth=1
	s_cmp_lt_i32 s79, 1
	s_cbranch_scc1 .LBB3_84
; %bb.73:                               ;   in Loop: Header=BB3_4 Depth=1
	s_add_i32 s42, s2, 1
	s_not_b32 s43, s2
	s_and_b64 s[40:41], s[12:13], exec
	s_cselect_b32 s40, s42, s43
	s_mov_b32 s41, s40
	s_mov_b32 s42, s40
	;; [unrolled: 1-line block ×3, first 2 shown]
	v_mov_b64_e32 v[6:7], s[40:41]
	s_mov_b32 s44, 0
	v_mov_b32_e32 v10, s40
	v_mov_b64_e32 v[8:9], s[42:43]
	s_mov_b32 s45, 0
	s_branch .LBB3_75
.LBB3_74:                               ;   in Loop: Header=BB3_75 Depth=2
	s_add_i32 s44, s44, 1
	s_cmp_eq_u32 s44, s79
	s_cbranch_scc1 .LBB3_83
.LBB3_75:                               ;   Parent Loop BB3_4 Depth=1
                                        ; =>  This Loop Header: Depth=2
                                        ;       Child Loop BB3_78 Depth 3
                                        ;       Child Loop BB3_82 Depth 3
	s_lshl_b32 s40, s44, 1
	s_add_i32 s40, s40, s80
	s_ashr_i32 s41, s40, 31
	s_lshl_b64 s[40:41], s[40:41], 2
	s_add_u32 s42, s34, s40
	s_addc_u32 s43, s35, s41
	global_load_dwordx2 v[2:3], v19, s[42:43]
	s_waitcnt vmcnt(0)
	v_readfirstlane_b32 s42, v2
	v_readfirstlane_b32 s46, v3
	s_sub_i32 s47, s46, s42
	s_cmp_lt_i32 s47, 1
	s_cbranch_scc1 .LBB3_74
; %bb.76:                               ;   in Loop: Header=BB3_75 Depth=2
	s_add_u32 s40, s30, s40
	s_addc_u32 s41, s31, s41
	global_load_dwordx2 v[2:3], v19, s[40:41]
	s_cmp_lt_u32 s47, 16
	s_waitcnt vmcnt(0)
	v_add_f32_e32 v2, v2, v3
	v_mul_f32_e32 v2, 0.5, v2
	s_cbranch_scc1 .LBB3_80
; %bb.77:                               ;   in Loop: Header=BB3_75 Depth=2
	s_and_b32 s48, s47, 0x7ffffff0
	s_add_i32 s40, s45, s38
	s_mov_b32 s42, s48
.LBB3_78:                               ;   Parent Loop BB3_4 Depth=1
                                        ;     Parent Loop BB3_75 Depth=2
                                        ; =>    This Inner Loop Header: Depth=3
	s_ashr_i32 s41, s40, 31
	s_lshl_b64 s[50:51], s[40:41], 2
	s_add_u32 s52, s62, s50
	s_addc_u32 s53, s63, s51
	s_add_u32 s50, s64, s50
	s_addc_u32 s51, s65, s51
	s_add_i32 s40, s40, 16
	s_add_i32 s42, s42, -16
	v_mov_b32_e32 v3, v2
	v_mov_b32_e32 v4, v2
	v_mov_b32_e32 v5, v2
	s_cmp_lg_u32 s42, 0
	global_store_dwordx4 v19, v[2:5], s[52:53]
	global_store_dwordx4 v19, v[2:5], s[52:53] offset:16
	global_store_dwordx4 v19, v[2:5], s[52:53] offset:32
	;; [unrolled: 1-line block ×3, first 2 shown]
	global_store_dwordx4 v19, v[6:9], s[50:51]
	global_store_dwordx4 v19, v[6:9], s[50:51] offset:16
	global_store_dwordx4 v19, v[6:9], s[50:51] offset:32
	;; [unrolled: 1-line block ×3, first 2 shown]
	s_cbranch_scc1 .LBB3_78
; %bb.79:                               ;   in Loop: Header=BB3_75 Depth=2
	s_add_i32 s45, s45, s48
	s_cmp_lg_u32 s47, s48
	s_cselect_b64 s[40:41], -1, 0
	s_and_b64 vcc, exec, s[40:41]
	s_cbranch_vccz .LBB3_74
	s_branch .LBB3_81
.LBB3_80:                               ;   in Loop: Header=BB3_75 Depth=2
	s_mov_b32 s48, 0
	s_cbranch_execz .LBB3_74
.LBB3_81:                               ;   in Loop: Header=BB3_75 Depth=2
	s_ashr_i32 s41, s45, 31
	s_add_u32 s40, s38, s45
	s_addc_u32 s41, s39, s41
	s_lshl_b64 s[42:43], s[40:41], 2
	s_add_u32 s40, s62, s42
	s_addc_u32 s41, s63, s43
	s_add_u32 s42, s64, s42
	s_addc_u32 s43, s65, s43
.LBB3_82:                               ;   Parent Loop BB3_4 Depth=1
                                        ;     Parent Loop BB3_75 Depth=2
                                        ; =>    This Inner Loop Header: Depth=3
	s_add_i32 s45, s45, 1
	s_add_i32 s48, s48, 1
	global_store_dword v19, v2, s[40:41]
	global_store_dword v19, v10, s[42:43]
	s_add_u32 s40, s40, 4
	s_addc_u32 s41, s41, 0
	s_add_u32 s42, s42, 4
	s_addc_u32 s43, s43, 0
	s_cmp_ge_i32 s48, s47
	s_cbranch_scc0 .LBB3_82
	s_branch .LBB3_74
.LBB3_83:                               ;   in Loop: Header=BB3_4 Depth=1
	v_mov_b32_e32 v5, s46
.LBB3_84:                               ;   in Loop: Header=BB3_4 Depth=1
	s_xor_b64 s[12:13], s[12:13], -1
; %bb.85:                               ;   in Loop: Header=BB3_4 Depth=1
	s_and_b64 vcc, exec, s[12:13]
	s_cbranch_vccz .LBB3_87
; %bb.86:                               ;   in Loop: Header=BB3_4 Depth=1
	global_store_dword v19, v20, s[18:19]
.LBB3_87:                               ;   in Loop: Header=BB3_4 Depth=1
	s_or_b64 exec, exec, s[14:15]
	s_branch .LBB3_3
.LBB3_88:                               ;   in Loop: Header=BB3_4 Depth=1
	s_and_saveexec_b64 s[12:13], s[4:5]
	s_cbranch_execz .LBB3_2
; %bb.89:                               ;   in Loop: Header=BB3_4 Depth=1
	s_ashr_i32 s39, s38, 31
	s_lshl_b64 s[14:15], s[38:39], 2
	s_add_u32 s38, s58, s14
	s_addc_u32 s39, s59, s15
	global_load_dword v2, v19, s[38:39]
	s_andn2_b64 vcc, exec, s[36:37]
	s_mov_b64 s[38:39], -1
	s_cbranch_vccnz .LBB3_94
; %bb.90:                               ;   in Loop: Header=BB3_4 Depth=1
	global_load_dword v4, v19, s[16:17]
	s_waitcnt vmcnt(1)
	v_subrev_f32_e32 v3, s26, v2
	s_mov_b64 s[38:39], 0
	s_waitcnt vmcnt(0)
	v_cmp_lt_f32_e32 vcc, v4, v3
	v_cmp_nlt_f32_e64 s[40:41], v4, v3
	s_cbranch_vccz .LBB3_92
; %bb.91:                               ;   in Loop: Header=BB3_4 Depth=1
	global_load_dword v4, v19, s[16:17] offset:4
	s_mov_b64 s[38:39], -1
	s_waitcnt vmcnt(0)
	v_cmp_nge_f32_e64 s[40:41], v4, v3
.LBB3_92:                               ;   in Loop: Header=BB3_4 Depth=1
	s_andn2_b64 vcc, exec, s[40:41]
	s_cbranch_vccnz .LBB3_94
; %bb.93:                               ;   in Loop: Header=BB3_4 Depth=1
	s_add_u32 s38, s56, s28
	s_addc_u32 s39, s57, s29
	global_store_dword v19, v19, s[38:39]
	s_mov_b64 s[38:39], 0
.LBB3_94:                               ;   in Loop: Header=BB3_4 Depth=1
	s_and_b64 vcc, exec, s[38:39]
	s_cbranch_vccz .LBB3_2
; %bb.95:                               ;   in Loop: Header=BB3_4 Depth=1
	s_add_u32 s38, s62, s14
	s_addc_u32 s39, s63, s15
	s_add_u32 s28, s56, s28
	s_addc_u32 s29, s57, s29
	s_add_i32 s3, s2, 1
	s_add_u32 s14, s64, s14
	s_waitcnt vmcnt(0)
	global_store_dword v19, v2, s[38:39]
	s_addc_u32 s15, s65, s15
	v_mov_b32_e32 v2, s3
	global_store_dword v19, v20, s[28:29]
	global_store_dword v19, v2, s[14:15]
	s_branch .LBB3_2
.LBB3_96:
	s_endpgm
	.section	.rodata,"a",@progbits
	.p2align	6, 0x0
	.amdhsa_kernel _ZN9rocsolver6v33100L22stebz_bisection_kernelIfPfEEv15rocblas_erange_iT_T0_iiS5_iiPiPS4_lS6_lS6_lS6_S6_S7_S7_S7_S7_S6_S4_S4_
		.amdhsa_group_segment_fixed_size 4616
		.amdhsa_private_segment_fixed_size 0
		.amdhsa_kernarg_size 168
		.amdhsa_user_sgpr_count 2
		.amdhsa_user_sgpr_dispatch_ptr 0
		.amdhsa_user_sgpr_queue_ptr 0
		.amdhsa_user_sgpr_kernarg_segment_ptr 1
		.amdhsa_user_sgpr_dispatch_id 0
		.amdhsa_user_sgpr_kernarg_preload_length 0
		.amdhsa_user_sgpr_kernarg_preload_offset 0
		.amdhsa_user_sgpr_private_segment_size 0
		.amdhsa_uses_dynamic_stack 0
		.amdhsa_enable_private_segment 0
		.amdhsa_system_sgpr_workgroup_id_x 1
		.amdhsa_system_sgpr_workgroup_id_y 1
		.amdhsa_system_sgpr_workgroup_id_z 0
		.amdhsa_system_sgpr_workgroup_info 0
		.amdhsa_system_vgpr_workitem_id 0
		.amdhsa_next_free_vgpr 28
		.amdhsa_next_free_sgpr 90
		.amdhsa_accum_offset 28
		.amdhsa_reserve_vcc 1
		.amdhsa_float_round_mode_32 0
		.amdhsa_float_round_mode_16_64 0
		.amdhsa_float_denorm_mode_32 3
		.amdhsa_float_denorm_mode_16_64 3
		.amdhsa_dx10_clamp 1
		.amdhsa_ieee_mode 1
		.amdhsa_fp16_overflow 0
		.amdhsa_tg_split 0
		.amdhsa_exception_fp_ieee_invalid_op 0
		.amdhsa_exception_fp_denorm_src 0
		.amdhsa_exception_fp_ieee_div_zero 0
		.amdhsa_exception_fp_ieee_overflow 0
		.amdhsa_exception_fp_ieee_underflow 0
		.amdhsa_exception_fp_ieee_inexact 0
		.amdhsa_exception_int_div_zero 0
	.end_amdhsa_kernel
	.section	.text._ZN9rocsolver6v33100L22stebz_bisection_kernelIfPfEEv15rocblas_erange_iT_T0_iiS5_iiPiPS4_lS6_lS6_lS6_S6_S7_S7_S7_S7_S6_S4_S4_,"axG",@progbits,_ZN9rocsolver6v33100L22stebz_bisection_kernelIfPfEEv15rocblas_erange_iT_T0_iiS5_iiPiPS4_lS6_lS6_lS6_S6_S7_S7_S7_S7_S6_S4_S4_,comdat
.Lfunc_end3:
	.size	_ZN9rocsolver6v33100L22stebz_bisection_kernelIfPfEEv15rocblas_erange_iT_T0_iiS5_iiPiPS4_lS6_lS6_lS6_S6_S7_S7_S7_S7_S6_S4_S4_, .Lfunc_end3-_ZN9rocsolver6v33100L22stebz_bisection_kernelIfPfEEv15rocblas_erange_iT_T0_iiS5_iiPiPS4_lS6_lS6_lS6_S6_S7_S7_S7_S7_S6_S4_S4_
                                        ; -- End function
	.set _ZN9rocsolver6v33100L22stebz_bisection_kernelIfPfEEv15rocblas_erange_iT_T0_iiS5_iiPiPS4_lS6_lS6_lS6_S6_S7_S7_S7_S7_S6_S4_S4_.num_vgpr, 28
	.set _ZN9rocsolver6v33100L22stebz_bisection_kernelIfPfEEv15rocblas_erange_iT_T0_iiS5_iiPiPS4_lS6_lS6_lS6_S6_S7_S7_S7_S7_S6_S4_S4_.num_agpr, 0
	.set _ZN9rocsolver6v33100L22stebz_bisection_kernelIfPfEEv15rocblas_erange_iT_T0_iiS5_iiPiPS4_lS6_lS6_lS6_S6_S7_S7_S7_S7_S6_S4_S4_.numbered_sgpr, 90
	.set _ZN9rocsolver6v33100L22stebz_bisection_kernelIfPfEEv15rocblas_erange_iT_T0_iiS5_iiPiPS4_lS6_lS6_lS6_S6_S7_S7_S7_S7_S6_S4_S4_.num_named_barrier, 0
	.set _ZN9rocsolver6v33100L22stebz_bisection_kernelIfPfEEv15rocblas_erange_iT_T0_iiS5_iiPiPS4_lS6_lS6_lS6_S6_S7_S7_S7_S7_S6_S4_S4_.private_seg_size, 0
	.set _ZN9rocsolver6v33100L22stebz_bisection_kernelIfPfEEv15rocblas_erange_iT_T0_iiS5_iiPiPS4_lS6_lS6_lS6_S6_S7_S7_S7_S7_S6_S4_S4_.uses_vcc, 1
	.set _ZN9rocsolver6v33100L22stebz_bisection_kernelIfPfEEv15rocblas_erange_iT_T0_iiS5_iiPiPS4_lS6_lS6_lS6_S6_S7_S7_S7_S7_S6_S4_S4_.uses_flat_scratch, 0
	.set _ZN9rocsolver6v33100L22stebz_bisection_kernelIfPfEEv15rocblas_erange_iT_T0_iiS5_iiPiPS4_lS6_lS6_lS6_S6_S7_S7_S7_S7_S6_S4_S4_.has_dyn_sized_stack, 0
	.set _ZN9rocsolver6v33100L22stebz_bisection_kernelIfPfEEv15rocblas_erange_iT_T0_iiS5_iiPiPS4_lS6_lS6_lS6_S6_S7_S7_S7_S7_S6_S4_S4_.has_recursion, 0
	.set _ZN9rocsolver6v33100L22stebz_bisection_kernelIfPfEEv15rocblas_erange_iT_T0_iiS5_iiPiPS4_lS6_lS6_lS6_S6_S7_S7_S7_S7_S6_S4_S4_.has_indirect_call, 0
	.section	.AMDGPU.csdata,"",@progbits
; Kernel info:
; codeLenInByte = 4192
; TotalNumSgprs: 96
; NumVgprs: 28
; NumAgprs: 0
; TotalNumVgprs: 28
; ScratchSize: 0
; MemoryBound: 0
; FloatMode: 240
; IeeeMode: 1
; LDSByteSize: 4616 bytes/workgroup (compile time only)
; SGPRBlocks: 11
; VGPRBlocks: 3
; NumSGPRsForWavesPerEU: 96
; NumVGPRsForWavesPerEU: 28
; AccumOffset: 28
; Occupancy: 8
; WaveLimiterHint : 1
; COMPUTE_PGM_RSRC2:SCRATCH_EN: 0
; COMPUTE_PGM_RSRC2:USER_SGPR: 2
; COMPUTE_PGM_RSRC2:TRAP_HANDLER: 0
; COMPUTE_PGM_RSRC2:TGID_X_EN: 1
; COMPUTE_PGM_RSRC2:TGID_Y_EN: 1
; COMPUTE_PGM_RSRC2:TGID_Z_EN: 0
; COMPUTE_PGM_RSRC2:TIDIG_COMP_CNT: 0
; COMPUTE_PGM_RSRC3_GFX90A:ACCUM_OFFSET: 6
; COMPUTE_PGM_RSRC3_GFX90A:TG_SPLIT: 0
	.section	.text._ZN9rocsolver6v33100L22stebz_synthesis_kernelIfPfEEv15rocblas_erange_15rocblas_eorder_iiiT0_iiPiS6_PT_lS6_lS6_liS6_S8_S8_S8_S8_S6_S7_,"axG",@progbits,_ZN9rocsolver6v33100L22stebz_synthesis_kernelIfPfEEv15rocblas_erange_15rocblas_eorder_iiiT0_iiPiS6_PT_lS6_lS6_liS6_S8_S8_S8_S8_S6_S7_,comdat
	.globl	_ZN9rocsolver6v33100L22stebz_synthesis_kernelIfPfEEv15rocblas_erange_15rocblas_eorder_iiiT0_iiPiS6_PT_lS6_lS6_liS6_S8_S8_S8_S8_S6_S7_ ; -- Begin function _ZN9rocsolver6v33100L22stebz_synthesis_kernelIfPfEEv15rocblas_erange_15rocblas_eorder_iiiT0_iiPiS6_PT_lS6_lS6_liS6_S8_S8_S8_S8_S6_S7_
	.p2align	8
	.type	_ZN9rocsolver6v33100L22stebz_synthesis_kernelIfPfEEv15rocblas_erange_15rocblas_eorder_iiiT0_iiPiS6_PT_lS6_lS6_liS6_S8_S8_S8_S8_S6_S7_,@function
_ZN9rocsolver6v33100L22stebz_synthesis_kernelIfPfEEv15rocblas_erange_15rocblas_eorder_iiiT0_iiPiS6_PT_lS6_lS6_liS6_S8_S8_S8_S8_S6_S7_: ; @_ZN9rocsolver6v33100L22stebz_synthesis_kernelIfPfEEv15rocblas_erange_15rocblas_eorder_iiiT0_iiPiS6_PT_lS6_lS6_liS6_S8_S8_S8_S8_S6_S7_
; %bb.0:
	s_load_dword s3, s[0:1], 0xb4
	s_load_dword s4, s[0:1], 0x68
	s_waitcnt lgkmcnt(0)
	s_and_b32 s3, s3, 0xffff
	s_mul_i32 s2, s2, s3
	v_add_u32_e32 v4, s2, v0
	v_cmp_gt_i32_e32 vcc, s4, v4
	s_and_saveexec_b64 s[2:3], vcc
	s_cbranch_execz .LBB4_61
; %bb.1:
	s_load_dwordx16 s[4:19], s[0:1], 0x28
	v_ashrrev_i32_e32 v5, 31, v4
	s_waitcnt lgkmcnt(0)
	v_mov_b32_e32 v0, s6
	v_mov_b32_e32 v1, s7
	v_lshl_add_u64 v[0:1], v[4:5], 2, v[0:1]
	global_load_dword v39, v[0:1], off
	s_load_dwordx8 s[20:27], s[0:1], 0x70
	s_load_dwordx4 s[28:31], s[0:1], 0x0
	s_load_dword s33, s[0:1], 0x10
	v_mul_lo_u32 v0, s11, v4
	v_mul_lo_u32 v1, s10, v5
	v_mad_u64_u32 v[6:7], s[2:3], s10, v4, 0
	v_mul_lo_u32 v2, s15, v4
	v_mul_lo_u32 v3, s14, v5
	v_mad_u64_u32 v[16:17], s[2:3], s14, v4, 0
	;; [unrolled: 3-line block ×3, first 2 shown]
	s_waitcnt lgkmcnt(0)
	v_mul_lo_u32 v18, v4, s30
	v_mov_b32_e32 v8, s16
	v_mov_b32_e32 v9, s17
	;; [unrolled: 1-line block ×4, first 2 shown]
	v_add3_u32 v7, v7, v1, v0
	v_add3_u32 v17, v17, v3, v2
	;; [unrolled: 1-line block ×3, first 2 shown]
	v_ashrrev_i32_e32 v19, 31, v18
	s_cmpk_eq_i32 s28, 0xe9
	v_lshl_add_u64 v[0:1], v[6:7], 2, s[8:9]
	v_lshl_add_u64 v[2:3], v[16:17], 2, s[12:13]
	;; [unrolled: 1-line block ×4, first 2 shown]
	s_waitcnt vmcnt(0)
	v_cmp_lt_i32_e32 vcc, 0, v39
	v_cmp_gt_i32_e64 s[2:3], 1, v39
	s_cbranch_scc1 .LBB4_12
; %bb.2:
	v_mov_b32_e32 v10, 0
	s_and_saveexec_b64 s[6:7], vcc
	s_cbranch_execz .LBB4_14
; %bb.3:
	s_mov_b32 s15, 0
	s_mov_b64 s[10:11], 0
	v_mov_b32_e32 v10, 0
	s_mov_b32 s14, s15
	s_branch .LBB4_5
.LBB4_4:                                ;   in Loop: Header=BB4_5 Depth=1
	s_or_b64 exec, exec, s[16:17]
	s_add_i32 s14, s14, 1
	v_cmp_eq_u32_e32 vcc, s14, v39
	s_or_b64 s[10:11], vcc, s[10:11]
	s_andn2_b64 exec, exec, s[10:11]
	s_cbranch_execz .LBB4_13
.LBB4_5:                                ; =>This Loop Header: Depth=1
                                        ;     Child Loop BB4_10 Depth 2
	s_cmp_eq_u32 s14, 0
	s_cbranch_scc1 .LBB4_7
; %bb.6:                                ;   in Loop: Header=BB4_5 Depth=1
	v_lshl_add_u64 v[8:9], s[14:15], 2, v[14:15]
	global_load_dword v18, v[8:9], off offset:-4
	s_mov_b64 s[16:17], s[14:15]
	s_branch .LBB4_8
.LBB4_7:                                ;   in Loop: Header=BB4_5 Depth=1
	v_mov_b32_e32 v18, 0
	s_mov_b64 s[16:17], 0
.LBB4_8:                                ;   in Loop: Header=BB4_5 Depth=1
	v_lshl_add_u64 v[8:9], s[16:17], 2, v[12:13]
	global_load_dword v11, v[8:9], off
	s_waitcnt vmcnt(0)
	v_cmp_lt_i32_e32 vcc, 0, v11
	s_and_saveexec_b64 s[16:17], vcc
	s_cbranch_execz .LBB4_4
; %bb.9:                                ;   in Loop: Header=BB4_5 Depth=1
	v_ashrrev_i32_e32 v19, 31, v18
	v_ashrrev_i32_e32 v11, 31, v10
	v_lshlrev_b64 v[18:19], 2, v[18:19]
	v_lshlrev_b64 v[20:21], 2, v[10:11]
	s_mov_b32 s20, 0
	s_mov_b64 s[18:19], 0
	v_mov_b64_e32 v[22:23], v[2:3]
	v_mov_b64_e32 v[24:25], v[0:1]
.LBB4_10:                               ;   Parent Loop BB4_5 Depth=1
                                        ; =>  This Inner Loop Header: Depth=2
	v_lshl_add_u64 v[26:27], v[22:23], 0, v[18:19]
	global_load_dword v11, v[26:27], off
	v_lshl_add_u64 v[26:27], v[22:23], 0, v[20:21]
	s_add_i32 s20, s20, 1
	v_lshl_add_u64 v[22:23], v[22:23], 0, 4
	s_waitcnt vmcnt(0)
	global_store_dword v[26:27], v11, off
	global_load_dword v28, v[8:9], off
	v_lshl_add_u64 v[26:27], v[24:25], 0, v[18:19]
	global_load_dword v29, v[26:27], off
	v_lshl_add_u64 v[26:27], v[24:25], 0, v[20:21]
	v_lshl_add_u64 v[24:25], v[24:25], 0, 4
	v_add_u32_e32 v11, s20, v10
	s_waitcnt vmcnt(1)
	v_cmp_ge_i32_e32 vcc, s20, v28
	s_or_b64 s[18:19], vcc, s[18:19]
	s_waitcnt vmcnt(0)
	global_store_dword v[26:27], v29, off
	s_andn2_b64 exec, exec, s[18:19]
	s_cbranch_execnz .LBB4_10
; %bb.11:                               ;   in Loop: Header=BB4_5 Depth=1
	s_or_b64 exec, exec, s[18:19]
	v_mov_b32_e32 v10, v11
	s_branch .LBB4_4
.LBB4_12:
                                        ; implicit-def: $vgpr10
	s_branch .LBB4_15
.LBB4_13:
	s_or_b64 exec, exec, s[10:11]
.LBB4_14:
	s_or_b64 exec, exec, s[6:7]
	s_cbranch_execnz .LBB4_53
.LBB4_15:
	v_mov_b32_e32 v8, s22
	v_mov_b32_e32 v9, s23
	v_lshl_add_u64 v[8:9], v[4:5], 2, v[8:9]
	global_load_dword v38, v[8:9], off
	s_load_dwordx4 s[16:19], s[0:1], 0x90
	v_lshlrev_b32_e32 v18, 1, v4
	v_mul_lo_u32 v10, v18, s30
	v_ashrrev_i32_e32 v11, 31, v10
                                        ; implicit-def: $sgpr6_sgpr7
	s_and_saveexec_b64 s[10:11], s[2:3]
	s_xor_b64 s[2:3], exec, s[10:11]
; %bb.16:
	s_ashr_i32 s7, s30, 31
	s_mov_b32 s6, s30
                                        ; implicit-def: $vgpr39
                                        ; implicit-def: $vgpr12_vgpr13
                                        ; implicit-def: $vgpr14_vgpr15
                                        ; implicit-def: $vgpr16_vgpr17
; %bb.17:
	s_or_saveexec_b64 s[2:3], s[2:3]
	v_mov_b32_e32 v8, 0
	v_mov_b64_e32 v[22:23], s[6:7]
	v_lshlrev_b64 v[20:21], 2, v[10:11]
	s_xor_b64 exec, exec, s[2:3]
	s_cbranch_execz .LBB4_28
; %bb.18:
	s_ashr_i32 s7, s30, 31
	s_mov_b32 s6, s30
	s_mov_b32 s21, 0
	v_lshl_add_u64 v[22:23], v[6:7], 2, s[8:9]
	v_lshl_add_u64 v[16:17], v[16:17], 2, s[12:13]
	s_lshl_b64 s[10:11], s[6:7], 2
	s_waitcnt lgkmcnt(0)
	v_lshl_add_u64 v[24:25], s[16:17], 0, v[20:21]
	v_lshl_add_u64 v[26:27], s[18:19], 0, v[20:21]
	s_mov_b64 s[14:15], 0
	v_mov_b32_e32 v8, 0
	s_mov_b32 s20, s21
	s_branch .LBB4_20
.LBB4_19:                               ;   in Loop: Header=BB4_20 Depth=1
	s_or_b64 exec, exec, s[22:23]
	s_add_i32 s20, s20, 1
	v_cmp_eq_u32_e32 vcc, s20, v39
	s_or_b64 s[14:15], vcc, s[14:15]
	s_andn2_b64 exec, exec, s[14:15]
	s_cbranch_execz .LBB4_27
.LBB4_20:                               ; =>This Loop Header: Depth=1
                                        ;     Child Loop BB4_25 Depth 2
	s_cmp_eq_u32 s20, 0
	s_cbranch_scc1 .LBB4_22
; %bb.21:                               ;   in Loop: Header=BB4_20 Depth=1
	v_lshl_add_u64 v[28:29], s[20:21], 2, v[14:15]
	global_load_dword v30, v[28:29], off offset:-4
	s_mov_b64 s[22:23], s[20:21]
	s_branch .LBB4_23
.LBB4_22:                               ;   in Loop: Header=BB4_20 Depth=1
	v_mov_b32_e32 v30, 0
	s_mov_b64 s[22:23], 0
.LBB4_23:                               ;   in Loop: Header=BB4_20 Depth=1
	v_lshl_add_u64 v[28:29], s[22:23], 2, v[12:13]
	global_load_dword v9, v[28:29], off
	s_waitcnt vmcnt(0)
	v_cmp_lt_i32_e32 vcc, 0, v9
	s_and_saveexec_b64 s[22:23], vcc
	s_cbranch_execz .LBB4_19
; %bb.24:                               ;   in Loop: Header=BB4_20 Depth=1
	v_ashrrev_i32_e32 v31, 31, v30
	v_ashrrev_i32_e32 v9, 31, v8
	v_lshlrev_b64 v[32:33], 2, v[30:31]
	v_lshlrev_b64 v[36:37], 2, v[8:9]
	v_lshl_add_u64 v[30:31], v[22:23], 0, v[32:33]
	v_lshl_add_u64 v[32:33], v[16:17], 0, v[32:33]
	;; [unrolled: 1-line block ×4, first 2 shown]
	s_mov_b32 s28, 0
	s_mov_b64 s[34:35], 0
.LBB4_25:                               ;   Parent Loop BB4_20 Depth=1
                                        ; =>  This Inner Loop Header: Depth=2
	global_load_dword v9, v[32:33], off
	s_add_i32 s28, s28, 1
	v_lshl_add_u64 v[40:41], v[34:35], 0, s[10:11]
	v_lshl_add_u64 v[32:33], v[32:33], 0, 4
	s_waitcnt vmcnt(0)
	global_store_dword v[36:37], v9, off
	global_load_dword v19, v[28:29], off
	global_load_dword v42, v[30:31], off
	v_lshl_add_u64 v[30:31], v[30:31], 0, 4
	v_add_u32_e32 v9, s28, v8
	v_lshl_add_u64 v[36:37], v[36:37], 0, 4
	s_waitcnt vmcnt(0)
	global_store_dword v[34:35], v42, off
	global_store_dword v[40:41], v42, off
	v_cmp_ge_i32_e32 vcc, s28, v19
	v_lshl_add_u64 v[34:35], v[34:35], 0, 4
	s_or_b64 s[34:35], vcc, s[34:35]
	s_andn2_b64 exec, exec, s[34:35]
	s_cbranch_execnz .LBB4_25
; %bb.26:                               ;   in Loop: Header=BB4_20 Depth=1
	s_or_b64 exec, exec, s[34:35]
	v_mov_b32_e32 v8, v9
	s_branch .LBB4_19
.LBB4_27:
	s_or_b64 exec, exec, s[14:15]
	v_mov_b64_e32 v[22:23], s[6:7]
.LBB4_28:
	s_or_b64 exec, exec, s[2:3]
; %bb.29:
	s_waitcnt lgkmcnt(0)
	v_lshl_add_u64 v[12:13], s[16:17], 0, v[20:21]
	v_lshl_add_u64 v[14:15], s[18:19], 0, v[20:21]
	;; [unrolled: 1-line block ×3, first 2 shown]
	s_mov_b32 s6, 1
	v_cmp_lt_i32_e32 vcc, 1, v8
	s_and_saveexec_b64 s[10:11], vcc
	s_cbranch_execz .LBB4_37
; %bb.30:
	v_lshlrev_b64 v[22:23], 2, v[22:23]
	s_cmp_lg_u64 s[18:19], 0
	v_lshl_add_u64 v[10:11], v[10:11], 2, v[22:23]
	s_cselect_b64 s[2:3], -1, 0
	v_lshl_add_u64 v[10:11], s[16:17], 0, v[10:11]
	v_cndmask_b32_e64 v9, 0, 1, s[2:3]
	v_lshl_add_u64 v[20:21], v[14:15], 0, v[22:23]
	s_mov_b64 s[14:15], 0
	v_lshl_add_u64 v[10:11], v[10:11], 0, 4
	v_cmp_ne_u32_e64 s[2:3], 1, v9
	s_branch .LBB4_32
.LBB4_31:                               ;   in Loop: Header=BB4_32 Depth=1
	s_or_b64 exec, exec, s[16:17]
	s_add_i32 s6, s6, 1
	v_cmp_eq_u32_e32 vcc, s6, v8
	s_or_b64 s[14:15], vcc, s[14:15]
	v_lshl_add_u64 v[10:11], v[10:11], 0, 4
	s_andn2_b64 exec, exec, s[14:15]
	s_cbranch_execz .LBB4_37
.LBB4_32:                               ; =>This Loop Header: Depth=1
                                        ;     Child Loop BB4_33 Depth 2
	s_ashr_i32 s7, s6, 31
	v_lshl_add_u64 v[24:25], s[6:7], 2, v[16:17]
	global_load_dword v9, v[24:25], off offset:-4
	s_add_i32 s18, s6, -1
	v_mov_b32_e32 v22, s18
	s_mov_b64 s[16:17], 0
	v_mov_b64_e32 v[26:27], v[10:11]
	s_mov_b32 s19, s6
	s_waitcnt vmcnt(0)
	v_mov_b32_e32 v19, v9
.LBB4_33:                               ;   Parent Loop BB4_32 Depth=1
                                        ; =>  This Inner Loop Header: Depth=2
	global_load_dword v23, v[26:27], off
	v_mov_b32_e32 v28, s19
	s_add_i32 s19, s19, 1
	v_cmp_eq_u32_e32 vcc, s19, v8
	s_or_b64 s[16:17], vcc, s[16:17]
	v_lshl_add_u64 v[26:27], v[26:27], 0, 4
	s_waitcnt vmcnt(0)
	v_cmp_lt_f32_e32 vcc, v23, v19
	s_nop 1
	v_cndmask_b32_e32 v19, v19, v23, vcc
	v_cndmask_b32_e32 v22, v22, v28, vcc
	s_andn2_b64 exec, exec, s[16:17]
	s_cbranch_execnz .LBB4_33
; %bb.34:                               ;   in Loop: Header=BB4_32 Depth=1
	s_or_b64 exec, exec, s[16:17]
	v_cmp_ne_u32_e32 vcc, s18, v22
	s_and_saveexec_b64 s[16:17], vcc
	s_cbranch_execz .LBB4_31
; %bb.35:                               ;   in Loop: Header=BB4_32 Depth=1
	v_ashrrev_i32_e32 v23, 31, v22
	v_lshl_add_u64 v[26:27], v[22:23], 2, v[16:17]
	s_and_b64 vcc, exec, s[2:3]
	global_store_dword v[26:27], v9, off
	global_store_dword v[24:25], v19, off offset:-4
	s_cbranch_vccnz .LBB4_31
; %bb.36:                               ;   in Loop: Header=BB4_32 Depth=1
	v_lshl_add_u64 v[24:25], s[6:7], 2, v[20:21]
	v_lshl_add_u64 v[22:23], v[22:23], 2, v[20:21]
	global_load_dword v9, v[24:25], off offset:-4
	global_load_dword v19, v[22:23], off
	s_waitcnt vmcnt(1)
	global_store_dword v[22:23], v9, off
	s_waitcnt vmcnt(1)
	global_store_dword v[24:25], v19, off offset:-4
	s_branch .LBB4_31
.LBB4_37:
	s_or_b64 exec, exec, s[10:11]
	v_mov_b32_e32 v10, 0
	v_cmp_lt_i32_e32 vcc, 0, v8
	s_and_saveexec_b64 s[6:7], vcc
	s_cbranch_execz .LBB4_52
; %bb.38:
	s_load_dwordx4 s[16:19], s[0:1], 0x18
	v_mov_b32_e32 v10, s24
	s_add_i32 s24, s30, -1
	v_mul_lo_u32 v22, v4, s24
	v_mov_b32_e32 v11, s25
	s_waitcnt lgkmcnt(0)
	s_ashr_i32 s1, s18, 31
	s_mov_b32 s0, s18
	v_mad_i64_i32 v[20:21], s[2:3], v4, s19, 0
	v_lshlrev_b64 v[26:27], 2, v[20:21]
	s_lshl_b64 s[0:1], s[0:1], 2
	v_lshl_add_u64 v[20:21], s[16:17], 0, v[26:27]
	s_cmp_gt_i32 s30, 1
	v_lshl_add_u64 v[20:21], v[20:21], 0, s[0:1]
	s_cselect_b64 s[2:3], -1, 0
	s_add_u32 s0, s16, s0
	v_ashrrev_i32_e32 v23, 31, v22
	s_addc_u32 s1, s17, s1
	v_mov_b32_e32 v24, s26
	v_mov_b32_e32 v25, s27
	v_lshl_add_u64 v[22:23], v[22:23], 2, v[10:11]
	v_ashrrev_i32_e32 v19, 31, v18
	v_lshl_add_u64 v[10:11], s[0:1], 0, v[26:27]
	v_lshl_add_u64 v[18:19], v[18:19], 2, v[24:25]
	;; [unrolled: 1-line block ×3, first 2 shown]
	s_mov_b32 s15, 0
	v_cndmask_b32_e64 v11, 0, 1, s[2:3]
	v_add_u32_e32 v9, -1, v8
	s_mov_b64 s[10:11], 0
	v_mov_b32_e32 v10, 0
	v_cmp_ne_u32_e64 s[0:1], 1, v11
	s_mov_b32 s14, s15
	s_branch .LBB4_41
.LBB4_39:                               ;   in Loop: Header=BB4_41 Depth=1
	s_or_b64 exec, exec, s[2:3]
.LBB4_40:                               ;   in Loop: Header=BB4_41 Depth=1
	s_or_b64 exec, exec, s[16:17]
	s_add_i32 s14, s14, 1
	v_cmp_eq_u32_e32 vcc, s14, v8
	s_or_b64 s[10:11], vcc, s[10:11]
	s_andn2_b64 exec, exec, s[10:11]
	s_cbranch_execz .LBB4_51
.LBB4_41:                               ; =>This Loop Header: Depth=1
                                        ;     Child Loop BB4_43 Depth 2
                                        ;     Child Loop BB4_48 Depth 2
	v_lshl_add_u64 v[26:27], s[14:15], 2, v[12:13]
	global_load_dword v30, v[26:27], off
	s_mov_b64 s[16:17], 0
	v_mov_b64_e32 v[28:29], v[16:17]
	s_mov_b32 s25, s15
                                        ; implicit-def: $sgpr2_sgpr3
                                        ; implicit-def: $sgpr20_sgpr21
                                        ; implicit-def: $sgpr18_sgpr19
	s_branch .LBB4_43
.LBB4_42:                               ;   in Loop: Header=BB4_43 Depth=2
	s_or_b64 exec, exec, s[22:23]
	s_and_b64 s[22:23], exec, s[20:21]
	s_or_b64 s[16:17], s[22:23], s[16:17]
	s_andn2_b64 s[2:3], s[2:3], exec
	s_and_b64 s[22:23], s[18:19], exec
	v_mov_b32_e32 v31, s25
	s_or_b64 s[2:3], s[2:3], s[22:23]
	s_mov_b32 s25, s26
	s_andn2_b64 exec, exec, s[16:17]
	s_cbranch_execz .LBB4_45
.LBB4_43:                               ;   Parent Loop BB4_41 Depth=1
                                        ; =>  This Inner Loop Header: Depth=2
	global_load_dword v11, v[28:29], off
	v_mov_b64_e32 v[26:27], v[28:29]
	s_or_b64 s[18:19], s[18:19], exec
	s_or_b64 s[20:21], s[20:21], exec
                                        ; implicit-def: $sgpr26
                                        ; implicit-def: $vgpr28_vgpr29
	s_waitcnt vmcnt(0)
	v_cmp_neq_f32_e32 vcc, v30, v11
	s_and_saveexec_b64 s[22:23], vcc
	s_cbranch_execz .LBB4_42
; %bb.44:                               ;   in Loop: Header=BB4_43 Depth=2
	s_add_i32 s26, s25, 1
	v_cmp_eq_u32_e32 vcc, s26, v8
	s_andn2_b64 s[20:21], s[20:21], exec
	s_and_b64 s[34:35], vcc, exec
	v_lshl_add_u64 v[28:29], v[26:27], 0, 4
	s_andn2_b64 s[18:19], s[18:19], exec
	s_or_b64 s[20:21], s[20:21], s[34:35]
	s_branch .LBB4_42
.LBB4_45:                               ;   in Loop: Header=BB4_41 Depth=1
	s_or_b64 exec, exec, s[16:17]
	s_and_saveexec_b64 s[16:17], s[2:3]
	s_xor_b64 s[16:17], exec, s[16:17]
	s_cbranch_execz .LBB4_40
; %bb.46:                               ;   in Loop: Header=BB4_41 Depth=1
	v_cmp_eq_u32_e32 vcc, v31, v9
	s_nop 1
	v_cndmask_b32_e32 v27, v27, v19, vcc
	v_cndmask_b32_e32 v26, v26, v18, vcc
	global_load_dword v28, v[26:27], off offset:4
	global_load_dword v29, v[20:21], off
	s_and_b64 vcc, exec, s[0:1]
	s_waitcnt vmcnt(1)
	v_sub_f32_e32 v11, v28, v11
	v_fma_f32 v31, 0.5, v11, v30
	s_waitcnt vmcnt(0)
	v_sub_f32_e32 v26, v29, v31
	v_cmp_le_f32_e64 s[2:3], v26, v38
	s_nop 1
	v_cndmask_b32_e64 v11, 0, 1, s[2:3]
	s_cbranch_vccnz .LBB4_49
; %bb.47:                               ;   in Loop: Header=BB4_41 Depth=1
	v_cmp_gt_f32_e64 s[18:19], v26, -v38
	s_and_b64 s[2:3], s[2:3], s[18:19]
	v_cndmask_b32_e64 v32, v26, -v38, s[2:3]
	v_mov_b64_e32 v[26:27], v[22:23]
	v_mov_b64_e32 v[28:29], v[24:25]
	s_mov_b32 s18, s24
.LBB4_48:                               ;   Parent Loop BB4_41 Depth=1
                                        ; =>  This Inner Loop Header: Depth=2
	global_load_dword v33, v[26:27], off
	global_load_dword v34, v[28:29], off
	s_add_i32 s18, s18, -1
	v_lshl_add_u64 v[28:29], v[28:29], 0, 4
	v_lshl_add_u64 v[26:27], v[26:27], 0, 4
	s_waitcnt vmcnt(1)
	v_div_scale_f32 v35, s[2:3], v32, v32, v33
	v_rcp_f32_e32 v37, v35
	v_div_scale_f32 v36, vcc, v33, v32, v33
	s_waitcnt vmcnt(0)
	v_sub_f32_e32 v34, v34, v31
	v_fma_f32 v39, -v35, v37, 1.0
	v_fmac_f32_e32 v37, v39, v37
	v_mul_f32_e32 v39, v36, v37
	v_fma_f32 v40, -v35, v39, v36
	v_fmac_f32_e32 v39, v40, v37
	v_fma_f32 v35, -v35, v39, v36
	v_div_fmas_f32 v35, v35, v37, v39
	v_div_fixup_f32 v32, v35, v32, v33
	v_sub_f32_e32 v32, v34, v32
	v_cmp_le_f32_e32 vcc, v32, v38
	v_cmp_gt_f32_e64 s[20:21], v32, -v38
	s_nop 0
	v_addc_co_u32_e64 v11, s[2:3], 0, v11, vcc
	s_and_b64 s[2:3], vcc, s[20:21]
	s_cmp_lg_u32 s18, 0
	v_cndmask_b32_e64 v32, v32, -v38, s[2:3]
	s_cbranch_scc1 .LBB4_48
.LBB4_49:                               ;   in Loop: Header=BB4_41 Depth=1
	v_cmp_le_i32_e32 vcc, s31, v11
	v_cmp_ge_i32_e64 s[2:3], s33, v11
	s_and_b64 s[18:19], vcc, s[2:3]
	s_and_saveexec_b64 s[2:3], s[18:19]
	s_cbranch_execz .LBB4_39
; %bb.50:                               ;   in Loop: Header=BB4_41 Depth=1
	v_lshl_add_u64 v[26:27], s[14:15], 2, v[14:15]
	global_load_dword v31, v[26:27], off
	v_ashrrev_i32_e32 v11, 31, v10
	v_lshlrev_b64 v[26:27], 2, v[10:11]
	v_lshl_add_u64 v[28:29], v[0:1], 0, v[26:27]
	v_add_u32_e32 v10, 1, v10
	v_lshl_add_u64 v[26:27], v[2:3], 0, v[26:27]
	global_store_dword v[28:29], v30, off
	s_waitcnt vmcnt(1)
	global_store_dword v[26:27], v31, off
	s_branch .LBB4_39
.LBB4_51:
	s_or_b64 exec, exec, s[10:11]
.LBB4_52:
	s_or_b64 exec, exec, s[6:7]
.LBB4_53:
	s_cmpk_eq_i32 s29, 0xf2
	v_mov_b32_e32 v8, s4
	v_mov_b32_e32 v9, s5
	s_cselect_b64 s[0:1], -1, 0
	v_cmp_lt_i32_e32 vcc, 1, v10
	v_lshl_add_u64 v[4:5], v[4:5], 2, v[8:9]
	s_mov_b32 s2, 1
	s_and_b64 s[0:1], s[0:1], vcc
	global_store_dword v[4:5], v10, off
	s_and_b64 exec, exec, s[0:1]
	s_cbranch_execz .LBB4_61
; %bb.54:
	s_cmp_lg_u64 s[12:13], 0
	s_cselect_b64 s[0:1], -1, 0
	v_lshl_add_u64 v[4:5], v[6:7], 2, s[8:9]
	v_cndmask_b32_e64 v6, 0, 1, s[0:1]
	s_mov_b64 s[4:5], 0
	v_lshl_add_u64 v[4:5], v[4:5], 0, 4
	v_cmp_ne_u32_e64 s[0:1], 1, v6
	s_branch .LBB4_56
.LBB4_55:                               ;   in Loop: Header=BB4_56 Depth=1
	s_or_b64 exec, exec, s[6:7]
	s_add_i32 s2, s2, 1
	v_cmp_eq_u32_e32 vcc, s2, v10
	s_or_b64 s[4:5], vcc, s[4:5]
	v_lshl_add_u64 v[4:5], v[4:5], 0, 4
	s_andn2_b64 exec, exec, s[4:5]
	s_cbranch_execz .LBB4_61
.LBB4_56:                               ; =>This Loop Header: Depth=1
                                        ;     Child Loop BB4_57 Depth 2
	s_ashr_i32 s3, s2, 31
	v_lshl_add_u64 v[8:9], s[2:3], 2, v[0:1]
	global_load_dword v11, v[8:9], off offset:-4
	s_add_i32 s8, s2, -1
	v_mov_b32_e32 v6, s8
	s_mov_b64 s[6:7], 0
	v_mov_b64_e32 v[12:13], v[4:5]
	s_mov_b32 s9, s2
	s_waitcnt vmcnt(0)
	v_mov_b32_e32 v14, v11
.LBB4_57:                               ;   Parent Loop BB4_56 Depth=1
                                        ; =>  This Inner Loop Header: Depth=2
	global_load_dword v7, v[12:13], off
	v_mov_b32_e32 v15, s9
	s_add_i32 s9, s9, 1
	v_cmp_eq_u32_e32 vcc, s9, v10
	s_or_b64 s[6:7], vcc, s[6:7]
	v_lshl_add_u64 v[12:13], v[12:13], 0, 4
	s_waitcnt vmcnt(0)
	v_cmp_lt_f32_e32 vcc, v7, v14
	s_nop 1
	v_cndmask_b32_e32 v14, v14, v7, vcc
	v_cndmask_b32_e32 v6, v6, v15, vcc
	s_andn2_b64 exec, exec, s[6:7]
	s_cbranch_execnz .LBB4_57
; %bb.58:                               ;   in Loop: Header=BB4_56 Depth=1
	s_or_b64 exec, exec, s[6:7]
	v_cmp_ne_u32_e32 vcc, s8, v6
	s_and_saveexec_b64 s[6:7], vcc
	s_cbranch_execz .LBB4_55
; %bb.59:                               ;   in Loop: Header=BB4_56 Depth=1
	v_ashrrev_i32_e32 v7, 31, v6
	v_lshl_add_u64 v[12:13], v[6:7], 2, v[0:1]
	s_and_b64 vcc, exec, s[0:1]
	global_store_dword v[12:13], v11, off
	global_store_dword v[8:9], v14, off offset:-4
	s_cbranch_vccnz .LBB4_55
; %bb.60:                               ;   in Loop: Header=BB4_56 Depth=1
	v_lshl_add_u64 v[8:9], s[2:3], 2, v[2:3]
	v_lshl_add_u64 v[6:7], v[6:7], 2, v[2:3]
	global_load_dword v11, v[8:9], off offset:-4
	global_load_dword v12, v[6:7], off
	s_waitcnt vmcnt(1)
	global_store_dword v[6:7], v11, off
	s_waitcnt vmcnt(1)
	global_store_dword v[8:9], v12, off offset:-4
	s_branch .LBB4_55
.LBB4_61:
	s_endpgm
	.section	.rodata,"a",@progbits
	.p2align	6, 0x0
	.amdhsa_kernel _ZN9rocsolver6v33100L22stebz_synthesis_kernelIfPfEEv15rocblas_erange_15rocblas_eorder_iiiT0_iiPiS6_PT_lS6_lS6_liS6_S8_S8_S8_S8_S6_S7_
		.amdhsa_group_segment_fixed_size 0
		.amdhsa_private_segment_fixed_size 0
		.amdhsa_kernarg_size 424
		.amdhsa_user_sgpr_count 2
		.amdhsa_user_sgpr_dispatch_ptr 0
		.amdhsa_user_sgpr_queue_ptr 0
		.amdhsa_user_sgpr_kernarg_segment_ptr 1
		.amdhsa_user_sgpr_dispatch_id 0
		.amdhsa_user_sgpr_kernarg_preload_length 0
		.amdhsa_user_sgpr_kernarg_preload_offset 0
		.amdhsa_user_sgpr_private_segment_size 0
		.amdhsa_uses_dynamic_stack 0
		.amdhsa_enable_private_segment 0
		.amdhsa_system_sgpr_workgroup_id_x 1
		.amdhsa_system_sgpr_workgroup_id_y 0
		.amdhsa_system_sgpr_workgroup_id_z 0
		.amdhsa_system_sgpr_workgroup_info 0
		.amdhsa_system_vgpr_workitem_id 0
		.amdhsa_next_free_vgpr 43
		.amdhsa_next_free_sgpr 36
		.amdhsa_accum_offset 44
		.amdhsa_reserve_vcc 1
		.amdhsa_float_round_mode_32 0
		.amdhsa_float_round_mode_16_64 0
		.amdhsa_float_denorm_mode_32 3
		.amdhsa_float_denorm_mode_16_64 3
		.amdhsa_dx10_clamp 1
		.amdhsa_ieee_mode 1
		.amdhsa_fp16_overflow 0
		.amdhsa_tg_split 0
		.amdhsa_exception_fp_ieee_invalid_op 0
		.amdhsa_exception_fp_denorm_src 0
		.amdhsa_exception_fp_ieee_div_zero 0
		.amdhsa_exception_fp_ieee_overflow 0
		.amdhsa_exception_fp_ieee_underflow 0
		.amdhsa_exception_fp_ieee_inexact 0
		.amdhsa_exception_int_div_zero 0
	.end_amdhsa_kernel
	.section	.text._ZN9rocsolver6v33100L22stebz_synthesis_kernelIfPfEEv15rocblas_erange_15rocblas_eorder_iiiT0_iiPiS6_PT_lS6_lS6_liS6_S8_S8_S8_S8_S6_S7_,"axG",@progbits,_ZN9rocsolver6v33100L22stebz_synthesis_kernelIfPfEEv15rocblas_erange_15rocblas_eorder_iiiT0_iiPiS6_PT_lS6_lS6_liS6_S8_S8_S8_S8_S6_S7_,comdat
.Lfunc_end4:
	.size	_ZN9rocsolver6v33100L22stebz_synthesis_kernelIfPfEEv15rocblas_erange_15rocblas_eorder_iiiT0_iiPiS6_PT_lS6_lS6_liS6_S8_S8_S8_S8_S6_S7_, .Lfunc_end4-_ZN9rocsolver6v33100L22stebz_synthesis_kernelIfPfEEv15rocblas_erange_15rocblas_eorder_iiiT0_iiPiS6_PT_lS6_lS6_liS6_S8_S8_S8_S8_S6_S7_
                                        ; -- End function
	.set _ZN9rocsolver6v33100L22stebz_synthesis_kernelIfPfEEv15rocblas_erange_15rocblas_eorder_iiiT0_iiPiS6_PT_lS6_lS6_liS6_S8_S8_S8_S8_S6_S7_.num_vgpr, 43
	.set _ZN9rocsolver6v33100L22stebz_synthesis_kernelIfPfEEv15rocblas_erange_15rocblas_eorder_iiiT0_iiPiS6_PT_lS6_lS6_liS6_S8_S8_S8_S8_S6_S7_.num_agpr, 0
	.set _ZN9rocsolver6v33100L22stebz_synthesis_kernelIfPfEEv15rocblas_erange_15rocblas_eorder_iiiT0_iiPiS6_PT_lS6_lS6_liS6_S8_S8_S8_S8_S6_S7_.numbered_sgpr, 36
	.set _ZN9rocsolver6v33100L22stebz_synthesis_kernelIfPfEEv15rocblas_erange_15rocblas_eorder_iiiT0_iiPiS6_PT_lS6_lS6_liS6_S8_S8_S8_S8_S6_S7_.num_named_barrier, 0
	.set _ZN9rocsolver6v33100L22stebz_synthesis_kernelIfPfEEv15rocblas_erange_15rocblas_eorder_iiiT0_iiPiS6_PT_lS6_lS6_liS6_S8_S8_S8_S8_S6_S7_.private_seg_size, 0
	.set _ZN9rocsolver6v33100L22stebz_synthesis_kernelIfPfEEv15rocblas_erange_15rocblas_eorder_iiiT0_iiPiS6_PT_lS6_lS6_liS6_S8_S8_S8_S8_S6_S7_.uses_vcc, 1
	.set _ZN9rocsolver6v33100L22stebz_synthesis_kernelIfPfEEv15rocblas_erange_15rocblas_eorder_iiiT0_iiPiS6_PT_lS6_lS6_liS6_S8_S8_S8_S8_S6_S7_.uses_flat_scratch, 0
	.set _ZN9rocsolver6v33100L22stebz_synthesis_kernelIfPfEEv15rocblas_erange_15rocblas_eorder_iiiT0_iiPiS6_PT_lS6_lS6_liS6_S8_S8_S8_S8_S6_S7_.has_dyn_sized_stack, 0
	.set _ZN9rocsolver6v33100L22stebz_synthesis_kernelIfPfEEv15rocblas_erange_15rocblas_eorder_iiiT0_iiPiS6_PT_lS6_lS6_liS6_S8_S8_S8_S8_S6_S7_.has_recursion, 0
	.set _ZN9rocsolver6v33100L22stebz_synthesis_kernelIfPfEEv15rocblas_erange_15rocblas_eorder_iiiT0_iiPiS6_PT_lS6_lS6_liS6_S8_S8_S8_S8_S6_S7_.has_indirect_call, 0
	.section	.AMDGPU.csdata,"",@progbits
; Kernel info:
; codeLenInByte = 2580
; TotalNumSgprs: 42
; NumVgprs: 43
; NumAgprs: 0
; TotalNumVgprs: 43
; ScratchSize: 0
; MemoryBound: 0
; FloatMode: 240
; IeeeMode: 1
; LDSByteSize: 0 bytes/workgroup (compile time only)
; SGPRBlocks: 5
; VGPRBlocks: 5
; NumSGPRsForWavesPerEU: 42
; NumVGPRsForWavesPerEU: 43
; AccumOffset: 44
; Occupancy: 8
; WaveLimiterHint : 1
; COMPUTE_PGM_RSRC2:SCRATCH_EN: 0
; COMPUTE_PGM_RSRC2:USER_SGPR: 2
; COMPUTE_PGM_RSRC2:TRAP_HANDLER: 0
; COMPUTE_PGM_RSRC2:TGID_X_EN: 1
; COMPUTE_PGM_RSRC2:TGID_Y_EN: 0
; COMPUTE_PGM_RSRC2:TGID_Z_EN: 0
; COMPUTE_PGM_RSRC2:TIDIG_COMP_CNT: 0
; COMPUTE_PGM_RSRC3_GFX90A:ACCUM_OFFSET: 10
; COMPUTE_PGM_RSRC3_GFX90A:TG_SPLIT: 0
	.section	.text._ZN9rocsolver6v33100L18stebz_case1_kernelIdPdEEv15rocblas_erange_T_S4_T0_ilPiS6_PS4_lS6_lS6_li,"axG",@progbits,_ZN9rocsolver6v33100L18stebz_case1_kernelIdPdEEv15rocblas_erange_T_S4_T0_ilPiS6_PS4_lS6_lS6_li,comdat
	.globl	_ZN9rocsolver6v33100L18stebz_case1_kernelIdPdEEv15rocblas_erange_T_S4_T0_ilPiS6_PS4_lS6_lS6_li ; -- Begin function _ZN9rocsolver6v33100L18stebz_case1_kernelIdPdEEv15rocblas_erange_T_S4_T0_ilPiS6_PS4_lS6_lS6_li
	.p2align	8
	.type	_ZN9rocsolver6v33100L18stebz_case1_kernelIdPdEEv15rocblas_erange_T_S4_T0_ilPiS6_PS4_lS6_lS6_li,@function
_ZN9rocsolver6v33100L18stebz_case1_kernelIdPdEEv15rocblas_erange_T_S4_T0_ilPiS6_PS4_lS6_lS6_li: ; @_ZN9rocsolver6v33100L18stebz_case1_kernelIdPdEEv15rocblas_erange_T_S4_T0_ilPiS6_PS4_lS6_lS6_li
; %bb.0:
	s_load_dword s3, s[0:1], 0x84
	s_load_dword s4, s[0:1], 0x70
	s_waitcnt lgkmcnt(0)
	s_and_b32 s3, s3, 0xffff
	s_mul_i32 s2, s2, s3
	v_add_u32_e32 v0, s2, v0
	v_cmp_gt_i32_e32 vcc, s4, v0
	s_and_saveexec_b64 s[2:3], vcc
	s_cbranch_execz .LBB5_7
; %bb.1:
	s_load_dword s2, s[0:1], 0x20
	s_load_dwordx16 s[4:19], s[0:1], 0x28
	s_load_dwordx2 s[20:21], s[0:1], 0x18
	v_ashrrev_i32_e32 v1, 31, v0
	s_waitcnt lgkmcnt(0)
	s_ashr_i32 s3, s2, 31
	v_mul_lo_u32 v4, s5, v0
	v_mul_lo_u32 v5, s4, v1
	v_mad_u64_u32 v[2:3], s[4:5], s4, v0, 0
	v_add3_u32 v3, v3, v5, v4
	v_lshl_add_u64 v[2:3], v[2:3], 3, s[20:21]
	v_lshl_add_u64 v[2:3], s[2:3], 3, v[2:3]
	global_load_dwordx2 v[2:3], v[2:3], off
	s_load_dword s4, s[0:1], 0x0
	s_load_dwordx2 s[2:3], s[0:1], 0x68
	v_mov_b32_e32 v4, s8
	v_mov_b32_e32 v5, s9
	;; [unrolled: 1-line block ×3, first 2 shown]
	s_waitcnt lgkmcnt(0)
	s_cmpk_lg_i32 s4, 0xe8
	v_mul_lo_u32 v10, s3, v0
	v_mul_lo_u32 v11, s2, v1
	v_mad_u64_u32 v[8:9], s[2:3], s2, v0, 0
	v_mov_b32_e32 v7, s19
	v_add3_u32 v9, v9, v11, v10
	s_cselect_b64 s[4:5], -1, 0
	v_lshl_add_u64 v[6:7], v[8:9], 2, v[6:7]
	v_lshl_add_u64 v[4:5], v[0:1], 2, v[4:5]
	v_mov_b32_e32 v8, 1
	s_and_b64 vcc, exec, s[4:5]
	global_store_dword v[4:5], v8, off
	global_store_dword v[6:7], v8, off
	s_cbranch_vccnz .LBB5_3
; %bb.2:
	s_load_dwordx4 s[20:23], s[0:1], 0x8
	s_andn2_b64 s[4:5], s[4:5], exec
	s_mov_b64 s[2:3], -1
	s_waitcnt vmcnt(2) lgkmcnt(0)
	v_cmp_nge_f64_e32 vcc, s[20:21], v[2:3]
	v_cmp_nlt_f64_e64 s[0:1], s[22:23], v[2:3]
	s_and_b64 s[0:1], vcc, s[0:1]
	s_and_b64 s[0:1], s[0:1], exec
	s_or_b64 s[4:5], s[4:5], s[0:1]
	v_lshl_add_u64 v[4:5], v[0:1], 2, s[6:7]
	s_and_saveexec_b64 s[0:1], s[4:5]
	s_xor_b64 s[0:1], exec, s[0:1]
	s_cbranch_execnz .LBB5_4
	s_branch .LBB5_5
.LBB5_3:
	s_mov_b64 s[2:3], 0
	v_lshl_add_u64 v[4:5], v[0:1], 2, s[6:7]
	s_and_saveexec_b64 s[0:1], s[4:5]
	s_xor_b64 s[0:1], exec, s[0:1]
	s_cbranch_execz .LBB5_5
.LBB5_4:
	v_mul_lo_u32 v12, s13, v0
	v_mul_lo_u32 v13, s12, v1
	v_mad_u64_u32 v[10:11], s[4:5], s12, v0, 0
	v_mov_b32_e32 v6, s10
	v_mov_b32_e32 v7, s11
	v_add3_u32 v11, v11, v13, v12
	v_lshl_add_u64 v[6:7], v[10:11], 3, v[6:7]
	v_mul_lo_u32 v10, s17, v0
	v_mul_lo_u32 v11, s16, v1
	v_mad_u64_u32 v[0:1], s[4:5], s16, v0, 0
	v_mov_b32_e32 v8, s14
	v_mov_b32_e32 v9, s15
	v_add3_u32 v1, v1, v11, v10
	v_lshl_add_u64 v[0:1], v[0:1], 2, v[8:9]
	v_mov_b32_e32 v8, 1
	global_store_dword v[4:5], v8, off
	s_waitcnt vmcnt(3)
	global_store_dwordx2 v[6:7], v[2:3], off
	global_store_dword v[0:1], v8, off
	s_andn2_b64 s[2:3], s[2:3], exec
.LBB5_5:
	s_or_b64 exec, exec, s[0:1]
	s_and_b64 exec, exec, s[2:3]
	s_cbranch_execz .LBB5_7
; %bb.6:
	v_mov_b32_e32 v0, 0
	global_store_dword v[4:5], v0, off
.LBB5_7:
	s_endpgm
	.section	.rodata,"a",@progbits
	.p2align	6, 0x0
	.amdhsa_kernel _ZN9rocsolver6v33100L18stebz_case1_kernelIdPdEEv15rocblas_erange_T_S4_T0_ilPiS6_PS4_lS6_lS6_li
		.amdhsa_group_segment_fixed_size 0
		.amdhsa_private_segment_fixed_size 0
		.amdhsa_kernarg_size 376
		.amdhsa_user_sgpr_count 2
		.amdhsa_user_sgpr_dispatch_ptr 0
		.amdhsa_user_sgpr_queue_ptr 0
		.amdhsa_user_sgpr_kernarg_segment_ptr 1
		.amdhsa_user_sgpr_dispatch_id 0
		.amdhsa_user_sgpr_kernarg_preload_length 0
		.amdhsa_user_sgpr_kernarg_preload_offset 0
		.amdhsa_user_sgpr_private_segment_size 0
		.amdhsa_uses_dynamic_stack 0
		.amdhsa_enable_private_segment 0
		.amdhsa_system_sgpr_workgroup_id_x 1
		.amdhsa_system_sgpr_workgroup_id_y 0
		.amdhsa_system_sgpr_workgroup_id_z 0
		.amdhsa_system_sgpr_workgroup_info 0
		.amdhsa_system_vgpr_workitem_id 0
		.amdhsa_next_free_vgpr 14
		.amdhsa_next_free_sgpr 24
		.amdhsa_accum_offset 16
		.amdhsa_reserve_vcc 1
		.amdhsa_float_round_mode_32 0
		.amdhsa_float_round_mode_16_64 0
		.amdhsa_float_denorm_mode_32 3
		.amdhsa_float_denorm_mode_16_64 3
		.amdhsa_dx10_clamp 1
		.amdhsa_ieee_mode 1
		.amdhsa_fp16_overflow 0
		.amdhsa_tg_split 0
		.amdhsa_exception_fp_ieee_invalid_op 0
		.amdhsa_exception_fp_denorm_src 0
		.amdhsa_exception_fp_ieee_div_zero 0
		.amdhsa_exception_fp_ieee_overflow 0
		.amdhsa_exception_fp_ieee_underflow 0
		.amdhsa_exception_fp_ieee_inexact 0
		.amdhsa_exception_int_div_zero 0
	.end_amdhsa_kernel
	.section	.text._ZN9rocsolver6v33100L18stebz_case1_kernelIdPdEEv15rocblas_erange_T_S4_T0_ilPiS6_PS4_lS6_lS6_li,"axG",@progbits,_ZN9rocsolver6v33100L18stebz_case1_kernelIdPdEEv15rocblas_erange_T_S4_T0_ilPiS6_PS4_lS6_lS6_li,comdat
.Lfunc_end5:
	.size	_ZN9rocsolver6v33100L18stebz_case1_kernelIdPdEEv15rocblas_erange_T_S4_T0_ilPiS6_PS4_lS6_lS6_li, .Lfunc_end5-_ZN9rocsolver6v33100L18stebz_case1_kernelIdPdEEv15rocblas_erange_T_S4_T0_ilPiS6_PS4_lS6_lS6_li
                                        ; -- End function
	.set _ZN9rocsolver6v33100L18stebz_case1_kernelIdPdEEv15rocblas_erange_T_S4_T0_ilPiS6_PS4_lS6_lS6_li.num_vgpr, 14
	.set _ZN9rocsolver6v33100L18stebz_case1_kernelIdPdEEv15rocblas_erange_T_S4_T0_ilPiS6_PS4_lS6_lS6_li.num_agpr, 0
	.set _ZN9rocsolver6v33100L18stebz_case1_kernelIdPdEEv15rocblas_erange_T_S4_T0_ilPiS6_PS4_lS6_lS6_li.numbered_sgpr, 24
	.set _ZN9rocsolver6v33100L18stebz_case1_kernelIdPdEEv15rocblas_erange_T_S4_T0_ilPiS6_PS4_lS6_lS6_li.num_named_barrier, 0
	.set _ZN9rocsolver6v33100L18stebz_case1_kernelIdPdEEv15rocblas_erange_T_S4_T0_ilPiS6_PS4_lS6_lS6_li.private_seg_size, 0
	.set _ZN9rocsolver6v33100L18stebz_case1_kernelIdPdEEv15rocblas_erange_T_S4_T0_ilPiS6_PS4_lS6_lS6_li.uses_vcc, 1
	.set _ZN9rocsolver6v33100L18stebz_case1_kernelIdPdEEv15rocblas_erange_T_S4_T0_ilPiS6_PS4_lS6_lS6_li.uses_flat_scratch, 0
	.set _ZN9rocsolver6v33100L18stebz_case1_kernelIdPdEEv15rocblas_erange_T_S4_T0_ilPiS6_PS4_lS6_lS6_li.has_dyn_sized_stack, 0
	.set _ZN9rocsolver6v33100L18stebz_case1_kernelIdPdEEv15rocblas_erange_T_S4_T0_ilPiS6_PS4_lS6_lS6_li.has_recursion, 0
	.set _ZN9rocsolver6v33100L18stebz_case1_kernelIdPdEEv15rocblas_erange_T_S4_T0_ilPiS6_PS4_lS6_lS6_li.has_indirect_call, 0
	.section	.AMDGPU.csdata,"",@progbits
; Kernel info:
; codeLenInByte = 512
; TotalNumSgprs: 30
; NumVgprs: 14
; NumAgprs: 0
; TotalNumVgprs: 14
; ScratchSize: 0
; MemoryBound: 0
; FloatMode: 240
; IeeeMode: 1
; LDSByteSize: 0 bytes/workgroup (compile time only)
; SGPRBlocks: 3
; VGPRBlocks: 1
; NumSGPRsForWavesPerEU: 30
; NumVGPRsForWavesPerEU: 14
; AccumOffset: 16
; Occupancy: 8
; WaveLimiterHint : 0
; COMPUTE_PGM_RSRC2:SCRATCH_EN: 0
; COMPUTE_PGM_RSRC2:USER_SGPR: 2
; COMPUTE_PGM_RSRC2:TRAP_HANDLER: 0
; COMPUTE_PGM_RSRC2:TGID_X_EN: 1
; COMPUTE_PGM_RSRC2:TGID_Y_EN: 0
; COMPUTE_PGM_RSRC2:TGID_Z_EN: 0
; COMPUTE_PGM_RSRC2:TIDIG_COMP_CNT: 0
; COMPUTE_PGM_RSRC3_GFX90A:ACCUM_OFFSET: 3
; COMPUTE_PGM_RSRC3_GFX90A:TG_SPLIT: 0
	.section	.text._ZN9rocsolver6v33100L22stebz_splitting_kernelIdPdEEv15rocblas_erange_iT_S4_iiT0_iiS5_iiPiPS4_lS6_lS6_S7_S7_S7_S7_S6_S4_S4_,"axG",@progbits,_ZN9rocsolver6v33100L22stebz_splitting_kernelIdPdEEv15rocblas_erange_iT_S4_iiT0_iiS5_iiPiPS4_lS6_lS6_S7_S7_S7_S7_S6_S4_S4_,comdat
	.globl	_ZN9rocsolver6v33100L22stebz_splitting_kernelIdPdEEv15rocblas_erange_iT_S4_iiT0_iiS5_iiPiPS4_lS6_lS6_S7_S7_S7_S7_S6_S4_S4_ ; -- Begin function _ZN9rocsolver6v33100L22stebz_splitting_kernelIdPdEEv15rocblas_erange_iT_S4_iiT0_iiS5_iiPiPS4_lS6_lS6_S7_S7_S7_S7_S6_S4_S4_
	.p2align	8
	.type	_ZN9rocsolver6v33100L22stebz_splitting_kernelIdPdEEv15rocblas_erange_iT_S4_iiT0_iiS5_iiPiPS4_lS6_lS6_S7_S7_S7_S7_S6_S4_S4_,@function
_ZN9rocsolver6v33100L22stebz_splitting_kernelIdPdEEv15rocblas_erange_iT_S4_iiT0_iiS5_iiPiPS4_lS6_lS6_S7_S7_S7_S7_S6_S4_S4_: ; @_ZN9rocsolver6v33100L22stebz_splitting_kernelIdPdEEv15rocblas_erange_iT_S4_iiT0_iiS5_iiPiPS4_lS6_lS6_S7_S7_S7_S7_S6_S4_S4_
; %bb.0:
	s_load_dwordx2 s[34:35], s[0:1], 0x0
	s_mov_b32 s40, s3
	v_mov_b32_e32 v2, 0
	v_mov_b32_e32 v6, 0
	s_waitcnt lgkmcnt(0)
	s_add_i32 s33, s35, -1
	s_ashr_i32 s2, s33, 31
	s_lshr_b32 s2, s2, 24
	s_add_i32 s2, s33, s2
	s_ashr_i32 s3, s2, 8
	s_and_b32 s2, s2, 0xffffff00
	s_sub_i32 s2, s33, s2
	v_mov_b32_e32 v1, s3
	v_cmp_gt_i32_e32 vcc, s2, v0
	v_cmp_eq_u32_e64 s[2:3], 0, v0
	s_nop 0
	v_addc_co_u32_e32 v22, vcc, 0, v1, vcc
	v_lshlrev_b32_e32 v1, 2, v0
	v_cmp_ne_u32_e32 vcc, 0, v0
	ds_write_b32 v1, v22 offset:2048
	s_waitcnt lgkmcnt(0)
	s_barrier
	s_and_saveexec_b64 s[6:7], vcc
	s_cbranch_execz .LBB6_16
; %bb.1:
	v_cmp_lt_u32_e64 s[4:5], 3, v0
	s_mov_b64 s[10:11], -1
	v_mov_b32_e32 v6, 0
	v_mov_b32_e32 v3, 0
	s_and_saveexec_b64 s[8:9], s[4:5]
	s_cbranch_execz .LBB6_11
; %bb.2:
	v_add_u32_e32 v4, -4, v0
	v_lshrrev_b32_e32 v3, 2, v4
	v_cmp_lt_u32_e64 s[4:5], 27, v4
	v_mov_b32_e32 v4, 0
	v_mov_b32_e32 v5, v4
	v_add_u32_e32 v3, 1, v3
	s_mov_b32 s14, 0
	v_mov_b64_e32 v[6:7], v[4:5]
	v_mov_b32_e32 v9, v4
	s_and_saveexec_b64 s[10:11], s[4:5]
	s_cbranch_execz .LBB6_6
; %bb.3:
	v_and_b32_e32 v8, 0x7ffffff8, v3
	s_movk_i32 s15, 0x800
	s_mov_b64 s[12:13], 0
	v_mov_b32_e32 v7, 0
	v_mov_b32_e32 v6, 0
	;; [unrolled: 1-line block ×4, first 2 shown]
.LBB6_4:                                ; =>This Inner Loop Header: Depth=1
	v_mov_b32_e32 v9, s15
	ds_read_b128 v[10:13], v9
	ds_read_b128 v[14:17], v9 offset:16
	ds_read_b128 v[18:21], v9 offset:32
	;; [unrolled: 1-line block ×7, first 2 shown]
	s_waitcnt lgkmcnt(7)
	v_add_u32_e32 v6, v10, v6
	v_add_u32_e32 v7, v11, v7
	v_add_u32_e32 v4, v12, v4
	v_add_u32_e32 v5, v13, v5
	s_waitcnt lgkmcnt(6)
	v_add_u32_e32 v7, v15, v7
	v_add_u32_e32 v6, v14, v6
	v_add_u32_e32 v5, v17, v5
	v_add_u32_e32 v4, v16, v4
	;; [unrolled: 5-line block ×5, first 2 shown]
	v_add_u32_e32 v8, -8, v8
	s_waitcnt lgkmcnt(2)
	v_add_u32_e32 v7, v33, v7
	v_add_u32_e32 v6, v32, v6
	;; [unrolled: 1-line block ×4, first 2 shown]
	s_add_i32 s14, s14, 32
	s_addk_i32 s15, 0x80
	v_cmp_eq_u32_e64 s[4:5], 0, v8
	s_waitcnt lgkmcnt(1)
	v_add_u32_e32 v6, v36, v6
	v_add_u32_e32 v7, v37, v7
	v_add_u32_e32 v4, v38, v4
	v_add_u32_e32 v5, v39, v5
	v_mov_b32_e32 v9, s14
	s_or_b64 s[12:13], s[4:5], s[12:13]
	s_waitcnt lgkmcnt(0)
	v_add_u32_e32 v7, v41, v7
	v_add_u32_e32 v6, v40, v6
	;; [unrolled: 1-line block ×4, first 2 shown]
	s_andn2_b64 exec, exec, s[12:13]
	s_cbranch_execnz .LBB6_4
; %bb.5:
	s_or_b64 exec, exec, s[12:13]
.LBB6_6:
	s_or_b64 exec, exec, s[10:11]
	v_and_b32_e32 v3, 7, v3
	v_cmp_ne_u32_e64 s[4:5], 0, v3
	s_and_saveexec_b64 s[10:11], s[4:5]
	s_cbranch_execz .LBB6_10
; %bb.7:
	v_mov_b32_e32 v8, 0x800
	v_lshl_add_u32 v8, v9, 2, v8
	s_mov_b64 s[12:13], 0
.LBB6_8:                                ; =>This Inner Loop Header: Depth=1
	ds_read_b128 v[10:13], v8
	v_add_u32_e32 v3, -1, v3
	v_cmp_eq_u32_e64 s[4:5], 0, v3
	v_add_u32_e32 v8, 16, v8
	s_or_b64 s[12:13], s[4:5], s[12:13]
	s_waitcnt lgkmcnt(0)
	v_add_u32_e32 v7, v11, v7
	v_add_u32_e32 v6, v10, v6
	;; [unrolled: 1-line block ×4, first 2 shown]
	s_andn2_b64 exec, exec, s[12:13]
	s_cbranch_execnz .LBB6_8
; %bb.9:
	s_or_b64 exec, exec, s[12:13]
.LBB6_10:
	s_or_b64 exec, exec, s[10:11]
	v_and_b32_e32 v3, 0xfc, v0
	v_add_u32_e32 v5, v5, v7
	v_cmp_ne_u32_e64 s[4:5], v0, v3
	v_add3_u32 v6, v4, v6, v5
	s_orn2_b64 s[10:11], s[4:5], exec
.LBB6_11:
	s_or_b64 exec, exec, s[8:9]
	s_and_saveexec_b64 s[8:9], s[10:11]
	s_cbranch_execz .LBB6_15
; %bb.12:
	v_mov_b32_e32 v5, 0x800
	v_sub_u32_e32 v4, v0, v3
	v_lshl_or_b32 v3, v3, 2, v5
	s_mov_b64 s[10:11], 0
.LBB6_13:                               ; =>This Inner Loop Header: Depth=1
	ds_read_b32 v5, v3
	v_add_u32_e32 v4, -1, v4
	v_cmp_eq_u32_e64 s[4:5], 0, v4
	v_add_u32_e32 v3, 4, v3
	s_or_b64 s[10:11], s[4:5], s[10:11]
	s_waitcnt lgkmcnt(0)
	v_add_u32_e32 v6, v5, v6
	s_andn2_b64 exec, exec, s[10:11]
	s_cbranch_execnz .LBB6_13
; %bb.14:
	s_or_b64 exec, exec, s[10:11]
.LBB6_15:
	s_or_b64 exec, exec, s[8:9]
.LBB6_16:
	s_or_b64 exec, exec, s[6:7]
	s_load_dwordx4 s[36:39], s[0:1], 0x20
	s_load_dwordx16 s[8:23], s[0:1], 0x40
	s_load_dwordx2 s[46:47], s[0:1], 0xa0
	s_load_dwordx8 s[24:31], s[0:1], 0x80
	s_mul_i32 s4, s35, s40
	s_waitcnt lgkmcnt(0)
	s_ashr_i32 s43, s38, 31
	s_mov_b32 s42, s38
	s_mul_i32 s38, s33, s40
	s_ashr_i32 s5, s4, 31
	s_ashr_i32 s41, s40, 31
	s_mul_hi_i32 s45, s39, s40
	s_mul_i32 s44, s39, s40
	s_ashr_i32 s39, s38, 31
	s_lshl_b64 s[4:5], s[4:5], 2
	s_add_u32 s4, s18, s4
	s_mul_hi_u32 s6, s12, s40
	s_mul_i32 s7, s12, s41
	s_addc_u32 s5, s19, s5
	s_add_i32 s6, s6, s7
	s_mul_i32 s7, s13, s40
	v_ashrrev_i32_e32 v7, 31, v6
	s_add_i32 s13, s6, s7
	s_mul_i32 s12, s12, s40
	v_lshl_add_u64 v[4:5], v[6:7], 2, s[4:5]
	v_cmp_lt_i32_e64 s[4:5], 0, v22
	s_and_saveexec_b64 s[6:7], s[4:5]
	s_cbranch_execz .LBB6_22
; %bb.17:
	s_load_dwordx4 s[48:51], s[0:1], 0x30
	v_lshlrev_b64 v[2:3], 3, v[6:7]
	v_mov_b64_e32 v[16:17], s[46:47]
	s_waitcnt lgkmcnt(0)
	s_ashr_i32 s5, s50, 31
	s_mov_b32 s4, s50
	s_mul_hi_i32 s19, s40, s51
	s_mul_i32 s18, s40, s51
	s_lshl_b64 s[18:19], s[18:19], 3
	s_lshl_b64 s[4:5], s[4:5], 3
	s_add_u32 s4, s18, s4
	s_addc_u32 s5, s19, s5
	s_add_u32 s4, s48, s4
	s_addc_u32 s5, s49, s5
	v_lshl_add_u64 v[8:9], s[4:5], 0, v[2:3]
	s_lshl_b64 s[4:5], s[44:45], 3
	s_lshl_b64 s[18:19], s[42:43], 3
	s_add_u32 s4, s4, s18
	s_addc_u32 s5, s5, s19
	s_add_u32 s4, s36, s4
	s_addc_u32 s5, s37, s5
	v_lshl_add_u64 v[10:11], s[4:5], 0, v[2:3]
	s_lshl_b64 s[4:5], s[38:39], 3
	s_add_u32 s4, s22, s4
	s_addc_u32 s5, s23, s5
	v_lshl_add_u64 v[12:13], s[4:5], 0, v[2:3]
	s_lshl_b64 s[4:5], s[12:13], 3
	s_add_u32 s4, s10, s4
	s_addc_u32 s5, s11, s5
	v_lshl_add_u64 v[14:15], s[4:5], 0, v[2:3]
	v_mov_b32_e32 v2, 0
	s_mov_b64 s[18:19], 0
	s_branch .LBB6_19
.LBB6_18:                               ;   in Loop: Header=BB6_19 Depth=1
	s_or_b64 exec, exec, s[48:49]
	v_add_u32_e32 v22, -1, v22
	v_cmp_eq_u32_e64 s[4:5], 0, v22
	global_store_dwordx2 v[12:13], v[20:21], off
	global_store_dwordx2 v[14:15], v[18:19], off
	v_add_u32_e32 v6, 1, v6
	v_lshl_add_u64 v[8:9], v[8:9], 0, 8
	v_lshl_add_u64 v[10:11], v[10:11], 0, 8
	;; [unrolled: 1-line block ×3, first 2 shown]
	s_or_b64 s[18:19], s[4:5], s[18:19]
	v_lshl_add_u64 v[14:15], v[14:15], 0, 8
	s_andn2_b64 exec, exec, s[18:19]
	s_cbranch_execz .LBB6_21
.LBB6_19:                               ; =>This Inner Loop Header: Depth=1
	global_load_dwordx2 v[18:19], v[8:9], off
	global_load_dwordx4 v[24:27], v[10:11], off
	s_waitcnt vmcnt(1)
	v_mul_f64 v[20:21], v[18:19], v[18:19]
	s_waitcnt vmcnt(0)
	v_mul_f64 v[24:25], v[24:25], v[26:27]
	v_mul_f64 v[24:25], s[30:31], |v[24:25]|
	v_fma_f64 v[24:25], s[30:31], v[24:25], v[16:17]
	v_cmp_gt_f64_e64 s[4:5], v[24:25], v[20:21]
	s_and_saveexec_b64 s[48:49], s[4:5]
	s_cbranch_execz .LBB6_18
; %bb.20:                               ;   in Loop: Header=BB6_19 Depth=1
	v_ashrrev_i32_e32 v3, 31, v2
	v_add_u32_e32 v7, 1, v2
	v_lshl_add_u64 v[2:3], v[2:3], 2, v[4:5]
	global_store_dword v[2:3], v6, off
	v_mov_b64_e32 v[20:21], 0
	v_mov_b64_e32 v[18:19], 0
	v_mov_b32_e32 v2, v7
	s_branch .LBB6_18
.LBB6_21:
	s_or_b64 exec, exec, s[18:19]
.LBB6_22:
	s_or_b64 exec, exec, s[6:7]
	v_or_b32_e32 v1, 0x800, v1
	v_mov_b32_e32 v6, 0
	ds_write_b32 v1, v2
	s_waitcnt lgkmcnt(0)
	s_barrier
	s_and_saveexec_b64 s[4:5], vcc
	s_cbranch_execz .LBB6_38
; %bb.23:
	v_cmp_lt_u32_e32 vcc, 3, v0
	s_mov_b64 s[18:19], -1
	v_mov_b32_e32 v6, 0
	v_mov_b32_e32 v3, 0
	s_and_saveexec_b64 s[6:7], vcc
	s_cbranch_execz .LBB6_33
; %bb.24:
	v_add_u32_e32 v6, -4, v0
	v_lshrrev_b32_e32 v3, 2, v6
	v_cmp_lt_u32_e32 vcc, 27, v6
	v_mov_b32_e32 v6, 0
	v_mov_b32_e32 v7, v6
	v_add_u32_e32 v3, 1, v3
	s_mov_b32 s50, 0
	v_mov_b64_e32 v[8:9], v[6:7]
	v_mov_b32_e32 v11, v6
	s_and_saveexec_b64 s[18:19], vcc
	s_cbranch_execz .LBB6_28
; %bb.25:
	v_and_b32_e32 v10, 0x7ffffff8, v3
	s_movk_i32 s51, 0x800
	s_mov_b64 s[48:49], 0
	v_mov_b32_e32 v9, 0
	v_mov_b32_e32 v8, 0
	;; [unrolled: 1-line block ×4, first 2 shown]
.LBB6_26:                               ; =>This Inner Loop Header: Depth=1
	v_mov_b32_e32 v11, s51
	ds_read_b128 v[12:15], v11
	ds_read_b128 v[16:19], v11 offset:16
	ds_read_b128 v[20:23], v11 offset:32
	;; [unrolled: 1-line block ×7, first 2 shown]
	s_waitcnt lgkmcnt(7)
	v_add_u32_e32 v8, v12, v8
	v_add_u32_e32 v9, v13, v9
	v_add_u32_e32 v6, v14, v6
	v_add_u32_e32 v7, v15, v7
	s_waitcnt lgkmcnt(6)
	v_add_u32_e32 v9, v17, v9
	v_add_u32_e32 v8, v16, v8
	v_add_u32_e32 v7, v19, v7
	v_add_u32_e32 v6, v18, v6
	;; [unrolled: 5-line block ×5, first 2 shown]
	v_add_u32_e32 v10, -8, v10
	s_waitcnt lgkmcnt(2)
	v_add_u32_e32 v9, v33, v9
	v_add_u32_e32 v8, v32, v8
	;; [unrolled: 1-line block ×4, first 2 shown]
	s_add_i32 s50, s50, 32
	s_addk_i32 s51, 0x80
	v_cmp_eq_u32_e32 vcc, 0, v10
	s_waitcnt lgkmcnt(1)
	v_add_u32_e32 v8, v36, v8
	v_add_u32_e32 v9, v37, v9
	;; [unrolled: 1-line block ×4, first 2 shown]
	v_mov_b32_e32 v11, s50
	s_or_b64 s[48:49], vcc, s[48:49]
	s_waitcnt lgkmcnt(0)
	v_add_u32_e32 v9, v41, v9
	v_add_u32_e32 v8, v40, v8
	;; [unrolled: 1-line block ×4, first 2 shown]
	s_andn2_b64 exec, exec, s[48:49]
	s_cbranch_execnz .LBB6_26
; %bb.27:
	s_or_b64 exec, exec, s[48:49]
.LBB6_28:
	s_or_b64 exec, exec, s[18:19]
	v_and_b32_e32 v3, 7, v3
	v_cmp_ne_u32_e32 vcc, 0, v3
	s_and_saveexec_b64 s[18:19], vcc
	s_cbranch_execz .LBB6_32
; %bb.29:
	v_mov_b32_e32 v10, 0x800
	v_lshl_add_u32 v10, v11, 2, v10
	s_mov_b64 s[48:49], 0
.LBB6_30:                               ; =>This Inner Loop Header: Depth=1
	ds_read_b128 v[12:15], v10
	v_add_u32_e32 v3, -1, v3
	v_cmp_eq_u32_e32 vcc, 0, v3
	v_add_u32_e32 v10, 16, v10
	s_or_b64 s[48:49], vcc, s[48:49]
	s_waitcnt lgkmcnt(0)
	v_add_u32_e32 v9, v13, v9
	v_add_u32_e32 v8, v12, v8
	;; [unrolled: 1-line block ×4, first 2 shown]
	s_andn2_b64 exec, exec, s[48:49]
	s_cbranch_execnz .LBB6_30
; %bb.31:
	s_or_b64 exec, exec, s[48:49]
.LBB6_32:
	s_or_b64 exec, exec, s[18:19]
	v_and_b32_e32 v3, 0xfc, v0
	v_add_u32_e32 v7, v7, v9
	v_cmp_ne_u32_e32 vcc, v0, v3
	v_add3_u32 v6, v6, v8, v7
	s_orn2_b64 s[18:19], vcc, exec
.LBB6_33:
	s_or_b64 exec, exec, s[6:7]
	s_and_saveexec_b64 s[6:7], s[18:19]
	s_cbranch_execz .LBB6_37
; %bb.34:
	v_mov_b32_e32 v8, 0x800
	v_sub_u32_e32 v7, v0, v3
	v_lshl_or_b32 v3, v3, 2, v8
	s_mov_b64 s[18:19], 0
.LBB6_35:                               ; =>This Inner Loop Header: Depth=1
	ds_read_b32 v8, v3
	v_add_u32_e32 v7, -1, v7
	v_cmp_eq_u32_e32 vcc, 0, v7
	v_add_u32_e32 v3, 4, v3
	s_or_b64 s[18:19], vcc, s[18:19]
	s_waitcnt lgkmcnt(0)
	v_add_u32_e32 v6, v8, v6
	s_andn2_b64 exec, exec, s[18:19]
	s_cbranch_execnz .LBB6_35
; %bb.36:
	s_or_b64 exec, exec, s[18:19]
.LBB6_37:
	s_or_b64 exec, exec, s[6:7]
.LBB6_38:
	s_or_b64 exec, exec, s[4:5]
	s_mul_i32 s4, s16, s41
	s_mul_hi_u32 s5, s16, s40
	s_add_i32 s4, s5, s4
	s_mul_i32 s5, s17, s40
	s_add_i32 s7, s4, s5
	s_mul_i32 s6, s16, s40
	v_cmp_lt_i32_e32 vcc, 0, v2
	s_and_saveexec_b64 s[4:5], vcc
	s_cbranch_execz .LBB6_41
; %bb.39:
	s_lshl_b64 s[16:17], s[6:7], 2
	s_add_u32 s16, s14, s16
	v_ashrrev_i32_e32 v7, 31, v6
	s_addc_u32 s17, s15, s17
	v_lshl_add_u64 v[8:9], v[6:7], 2, s[16:17]
	s_mov_b64 s[16:17], 0
	v_mov_b32_e32 v3, v2
.LBB6_40:                               ; =>This Inner Loop Header: Depth=1
	global_load_dword v7, v[4:5], off
	v_add_u32_e32 v3, -1, v3
	v_cmp_eq_u32_e32 vcc, 0, v3
	v_lshl_add_u64 v[4:5], v[4:5], 0, 4
	s_or_b64 s[16:17], vcc, s[16:17]
	s_waitcnt vmcnt(0)
	v_add_u32_e32 v7, 1, v7
	global_store_dword v[8:9], v7, off
	v_lshl_add_u64 v[8:9], v[8:9], 0, 4
	s_andn2_b64 exec, exec, s[16:17]
	s_cbranch_execnz .LBB6_40
.LBB6_41:
	s_or_b64 exec, exec, s[4:5]
	s_movk_i32 s4, 0xff
	v_cmp_eq_u32_e64 s[4:5], s4, v0
	s_and_saveexec_b64 s[16:17], s[4:5]
	s_cbranch_execz .LBB6_43
; %bb.42:
	s_lshl_b64 s[18:19], s[40:41], 2
	s_add_u32 s8, s8, s18
	s_addc_u32 s9, s9, s19
	s_lshl_b64 s[6:7], s[6:7], 2
	s_add_u32 s6, s14, s6
	v_add_u32_e32 v2, v6, v2
	s_addc_u32 s7, s15, s7
	v_ashrrev_i32_e32 v3, 31, v2
	v_lshl_add_u64 v[4:5], v[2:3], 2, s[6:7]
	v_mov_b32_e32 v3, s35
	v_mov_b32_e32 v7, 0
	v_add_u32_e32 v2, 1, v2
	global_store_dword v[4:5], v3, off
	global_store_dword v7, v2, s[8:9]
.LBB6_43:
	s_or_b64 exec, exec, s[16:17]
	v_cmp_gt_i32_e32 vcc, s33, v0
	v_mov_b64_e32 v[4:5], 0
	v_bfrev_b32_e32 v3, -2
	v_lshlrev_b32_e32 v2, 3, v0
	s_barrier
	s_and_saveexec_b64 s[8:9], vcc
	s_cbranch_execz .LBB6_47
; %bb.44:
	s_lshl_b64 s[6:7], s[38:39], 3
	s_add_u32 s6, s22, s6
	v_mov_b32_e32 v3, 0
	s_addc_u32 s7, s23, s7
	v_lshl_add_u64 v[6:7], s[6:7], 0, v[2:3]
	v_mov_b64_e32 v[4:5], 0
	v_bfrev_b32_e32 v3, -2
	s_mov_b64 s[14:15], 0
	s_brev_b32 s18, -2
	s_mov_b64 s[16:17], 0x800
	v_mov_b32_e32 v8, v0
.LBB6_45:                               ; =>This Inner Loop Header: Depth=1
	global_load_dwordx2 v[10:11], v[6:7], off
	v_cmp_eq_u32_e32 vcc, s18, v3
	v_add_u32_e32 v9, 1, v8
	v_add_u32_e32 v8, 0x100, v8
	v_cmp_le_i32_e64 s[6:7], s33, v8
	v_lshl_add_u64 v[6:7], v[6:7], 0, s[16:17]
	s_waitcnt vmcnt(0)
	v_cmp_lt_f64_e64 s[48:49], v[4:5], |v[10:11]|
	v_and_b32_e32 v12, 0x7fffffff, v11
	s_or_b64 vcc, s[48:49], vcc
	v_cndmask_b32_e32 v5, v5, v12, vcc
	v_cndmask_b32_e32 v4, v4, v10, vcc
	s_or_b64 s[14:15], s[6:7], s[14:15]
	v_cndmask_b32_e32 v3, v3, v9, vcc
	s_andn2_b64 exec, exec, s[14:15]
	s_cbranch_execnz .LBB6_45
; %bb.46:
	s_or_b64 exec, exec, s[14:15]
.LBB6_47:
	s_or_b64 exec, exec, s[8:9]
	s_cmp_lt_i32 s35, 3
	ds_write_b64 v2, v[4:5]
	ds_write_b32 v1, v3
	s_waitcnt lgkmcnt(0)
	s_barrier
	s_cbranch_scc1 .LBB6_82
; %bb.48:
	s_movk_i32 s6, 0x80
	v_cmp_gt_u32_e32 vcc, s6, v0
	s_and_saveexec_b64 s[8:9], vcc
	s_cbranch_execz .LBB6_54
; %bb.49:
	ds_read_b64 v[6:7], v2 offset:1024
	ds_read_b32 v8, v1 offset:512
	s_waitcnt lgkmcnt(1)
	v_cmp_lt_f64_e64 s[14:15], v[4:5], v[6:7]
	v_cmp_nlt_f64_e32 vcc, v[4:5], v[6:7]
	s_and_saveexec_b64 s[16:17], vcc
	s_cbranch_execz .LBB6_51
; %bb.50:
	v_cmp_eq_f64_e32 vcc, v[4:5], v[6:7]
	s_waitcnt lgkmcnt(0)
	v_cmp_gt_i32_e64 s[6:7], v3, v8
	s_and_b64 s[6:7], vcc, s[6:7]
	s_andn2_b64 s[14:15], s[14:15], exec
	s_and_b64 s[6:7], s[6:7], exec
	s_or_b64 s[14:15], s[14:15], s[6:7]
.LBB6_51:
	s_or_b64 exec, exec, s[16:17]
	s_and_saveexec_b64 s[6:7], s[14:15]
	s_cbranch_execz .LBB6_53
; %bb.52:
	s_waitcnt lgkmcnt(0)
	v_mov_b32_e32 v3, v8
	v_mov_b64_e32 v[4:5], v[6:7]
	ds_write_b64 v2, v[6:7]
	ds_write_b32 v1, v8
.LBB6_53:
	s_or_b64 exec, exec, s[6:7]
.LBB6_54:
	s_or_b64 exec, exec, s[8:9]
	v_cmp_gt_u32_e32 vcc, 64, v0
	s_waitcnt lgkmcnt(0)
	s_barrier
	s_and_saveexec_b64 s[14:15], vcc
	s_cbranch_execz .LBB6_81
; %bb.55:
	ds_read_b64 v[6:7], v2 offset:512
	ds_read_b32 v8, v1 offset:256
	s_waitcnt lgkmcnt(1)
	v_cmp_lt_f64_e64 s[8:9], v[4:5], v[6:7]
	v_cmp_nlt_f64_e32 vcc, v[4:5], v[6:7]
	s_and_saveexec_b64 s[16:17], vcc
	s_cbranch_execz .LBB6_57
; %bb.56:
	v_cmp_eq_f64_e32 vcc, v[4:5], v[6:7]
	s_waitcnt lgkmcnt(0)
	v_cmp_gt_i32_e64 s[6:7], v3, v8
	s_and_b64 s[6:7], vcc, s[6:7]
	s_andn2_b64 s[8:9], s[8:9], exec
	s_and_b64 s[6:7], s[6:7], exec
	s_or_b64 s[8:9], s[8:9], s[6:7]
.LBB6_57:
	s_or_b64 exec, exec, s[16:17]
	s_and_saveexec_b64 s[6:7], s[8:9]
	s_cbranch_execz .LBB6_59
; %bb.58:
	v_mov_b64_e32 v[4:5], v[6:7]
	s_waitcnt lgkmcnt(0)
	v_mov_b32_e32 v3, v8
	ds_write_b64 v2, v[6:7]
	ds_write_b32 v1, v8
.LBB6_59:
	s_or_b64 exec, exec, s[6:7]
	ds_read_b64 v[6:7], v2 offset:256
	s_waitcnt lgkmcnt(1)
	ds_read_b32 v8, v1 offset:128
	s_waitcnt lgkmcnt(1)
	v_cmp_lt_f64_e64 s[8:9], v[4:5], v[6:7]
	v_cmp_nlt_f64_e32 vcc, v[4:5], v[6:7]
	s_and_saveexec_b64 s[16:17], vcc
	s_cbranch_execz .LBB6_61
; %bb.60:
	v_cmp_eq_f64_e32 vcc, v[4:5], v[6:7]
	s_waitcnt lgkmcnt(0)
	v_cmp_gt_i32_e64 s[6:7], v3, v8
	s_and_b64 s[6:7], vcc, s[6:7]
	s_andn2_b64 s[8:9], s[8:9], exec
	s_and_b64 s[6:7], s[6:7], exec
	s_or_b64 s[8:9], s[8:9], s[6:7]
.LBB6_61:
	s_or_b64 exec, exec, s[16:17]
	s_and_saveexec_b64 s[6:7], s[8:9]
	s_cbranch_execz .LBB6_63
; %bb.62:
	v_mov_b64_e32 v[4:5], v[6:7]
	s_waitcnt lgkmcnt(0)
	v_mov_b32_e32 v3, v8
	ds_write_b64 v2, v[6:7]
	ds_write_b32 v1, v8
.LBB6_63:
	s_or_b64 exec, exec, s[6:7]
	ds_read_b64 v[6:7], v2 offset:128
	s_waitcnt lgkmcnt(1)
	;; [unrolled: 28-line block ×6, first 2 shown]
	ds_read_b32 v8, v1 offset:4
	s_waitcnt lgkmcnt(1)
	v_cmp_eq_f64_e64 s[6:7], v[4:5], v[6:7]
	s_waitcnt lgkmcnt(0)
	v_cmp_gt_i32_e64 s[8:9], v3, v8
	v_cmp_lt_f64_e32 vcc, v[4:5], v[6:7]
	s_and_b64 s[6:7], s[6:7], s[8:9]
	s_or_b64 s[6:7], vcc, s[6:7]
	s_and_b64 exec, exec, s[6:7]
	s_cbranch_execz .LBB6_81
; %bb.80:
	ds_write_b64 v2, v[6:7]
	ds_write_b32 v1, v8
.LBB6_81:
	s_or_b64 exec, exec, s[14:15]
.LBB6_82:
	v_mov_b32_e32 v1, 0
	s_waitcnt lgkmcnt(0)
	s_barrier
	ds_read_b64 v[2:3], v1
	s_load_dwordx4 s[48:51], s[0:1], 0x8
	v_mov_b32_e32 v1, s47
	s_mov_b64 s[18:19], -1
	s_cmpk_lg_i32 s34, 0xe9
	s_waitcnt lgkmcnt(0)
	v_mul_f64 v[2:3], s[46:47], v[2:3]
	v_cmp_gt_f64_e32 vcc, s[46:47], v[2:3]
	v_mov_b64_e32 v[4:5], s[50:51]
	s_nop 0
	v_cndmask_b32_e32 v7, v3, v1, vcc
	v_mov_b32_e32 v1, s46
	v_cndmask_b32_e32 v6, v2, v1, vcc
	v_mov_b64_e32 v[2:3], s[48:49]
	s_cbranch_scc1 .LBB6_131
; %bb.83:
	s_lshl_b64 s[44:45], s[44:45], 3
	s_add_u32 s6, s36, s44
	s_addc_u32 s7, s37, s45
	s_lshl_b64 s[42:43], s[42:43], 3
	s_add_u32 s46, s6, s42
	s_addc_u32 s47, s7, s43
	;; [unrolled: 3-line block ×4, first 2 shown]
	s_lshl_b32 s10, s35, 1
	s_mul_i32 s6, s10, s40
	s_ashr_i32 s7, s6, 31
	s_lshl_b64 s[16:17], s[6:7], 3
	s_add_u32 s8, s26, s16
	s_addc_u32 s9, s27, s17
	s_lshl_b64 s[12:13], s[6:7], 2
	s_add_u32 s14, s28, s12
	s_addc_u32 s15, s29, s13
	s_and_saveexec_b64 s[38:39], s[2:3]
	s_cbranch_execz .LBB6_91
; %bb.84:
	v_mov_b32_e32 v1, 0
	global_load_dwordx2 v[4:5], v1, s[22:23]
	global_load_dwordx2 v[10:11], v1, s[46:47]
	s_cmp_gt_i32 s35, 1
	s_cselect_b64 s[48:49], -1, 0
	s_cmp_lt_i32 s35, 2
	s_waitcnt vmcnt(1)
	v_and_b32_e32 v9, 0x7fffffff, v5
	s_waitcnt vmcnt(0)
	v_add_f64 v[2:3], v[10:11], -|v[4:5]|
	v_add_f64 v[12:13], v[10:11], -v[2:3]
	v_cmp_le_f64_e32 vcc, v[12:13], v[6:7]
	s_nop 1
	v_cndmask_b32_e64 v8, 0, 1, vcc
	s_cbranch_scc1 .LBB6_87
; %bb.85:
	v_cmp_gt_f64_e64 s[6:7], v[12:13], -v[6:7]
	s_and_b64 vcc, vcc, s[6:7]
	s_add_u32 s6, s44, s42
	s_addc_u32 s7, s45, s43
	s_add_u32 s6, s36, s6
	s_addc_u32 s7, s37, s7
	v_xor_b32_e32 v5, 0x80000000, v7
	s_add_u32 s50, s6, 8
	v_cndmask_b32_e32 v13, v13, v5, vcc
	v_cndmask_b32_e32 v12, v12, v6, vcc
	s_addc_u32 s51, s7, 0
	s_mov_b64 s[52:53], s[18:19]
	s_mov_b32 s11, s33
.LBB6_86:                               ; =>This Inner Loop Header: Depth=1
	global_load_dwordx2 v[14:15], v1, s[50:51]
	global_load_dwordx2 v[16:17], v1, s[52:53]
	s_add_i32 s11, s11, -1
	s_waitcnt vmcnt(1)
	v_add_f64 v[14:15], v[14:15], -v[2:3]
	s_waitcnt vmcnt(0)
	v_div_scale_f64 v[18:19], s[6:7], v[12:13], v[12:13], v[16:17]
	v_rcp_f64_e32 v[22:23], v[18:19]
	v_div_scale_f64 v[20:21], vcc, v[16:17], v[12:13], v[16:17]
	v_fma_f64 v[24:25], -v[18:19], v[22:23], 1.0
	v_fmac_f64_e32 v[22:23], v[22:23], v[24:25]
	v_fma_f64 v[24:25], -v[18:19], v[22:23], 1.0
	v_fmac_f64_e32 v[22:23], v[22:23], v[24:25]
	v_mul_f64 v[24:25], v[20:21], v[22:23]
	v_fma_f64 v[18:19], -v[18:19], v[24:25], v[20:21]
	v_div_fmas_f64 v[18:19], v[18:19], v[22:23], v[24:25]
	v_div_fixup_f64 v[12:13], v[18:19], v[12:13], v[16:17]
	v_add_f64 v[12:13], v[14:15], -v[12:13]
	v_cmp_gt_f64_e64 s[54:55], v[12:13], -v[6:7]
	v_cmp_le_f64_e32 vcc, v[12:13], v[6:7]
	s_nop 1
	v_addc_co_u32_e64 v8, s[6:7], 0, v8, vcc
	s_and_b64 vcc, vcc, s[54:55]
	s_add_u32 s50, s50, 8
	s_addc_u32 s51, s51, 0
	s_add_u32 s52, s52, 8
	s_addc_u32 s53, s53, 0
	v_cndmask_b32_e32 v13, v13, v5, vcc
	s_cmp_lg_u32 s11, 0
	v_cndmask_b32_e32 v12, v12, v6, vcc
	s_cbranch_scc1 .LBB6_86
.LBB6_87:
	v_mov_b32_e32 v5, v9
	v_add_f64 v[4:5], v[10:11], v[4:5]
	v_add_f64 v[10:11], v[10:11], -v[4:5]
	v_cmp_le_f64_e64 s[6:7], v[10:11], v[6:7]
	s_andn2_b64 vcc, exec, s[48:49]
	s_nop 0
	v_cndmask_b32_e64 v9, 0, 1, s[6:7]
	s_cbranch_vccnz .LBB6_90
; %bb.88:
	v_cmp_gt_f64_e64 s[48:49], v[10:11], -v[6:7]
	s_and_b64 vcc, s[6:7], s[48:49]
	s_add_u32 s6, s44, s42
	s_addc_u32 s7, s45, s43
	s_add_u32 s6, s36, s6
	s_addc_u32 s7, s37, s7
	v_xor_b32_e32 v1, 0x80000000, v7
	s_add_u32 s48, s6, 8
	v_cndmask_b32_e32 v11, v11, v1, vcc
	v_cndmask_b32_e32 v10, v10, v6, vcc
	s_addc_u32 s49, s7, 0
	v_mov_b32_e32 v12, 0
	s_mov_b64 s[50:51], s[18:19]
	s_mov_b32 s11, s33
.LBB6_89:                               ; =>This Inner Loop Header: Depth=1
	global_load_dwordx2 v[14:15], v12, s[48:49]
	global_load_dwordx2 v[16:17], v12, s[50:51]
	s_add_i32 s11, s11, -1
	s_waitcnt vmcnt(1)
	v_add_f64 v[14:15], v[14:15], -v[4:5]
	s_waitcnt vmcnt(0)
	v_div_scale_f64 v[18:19], s[6:7], v[10:11], v[10:11], v[16:17]
	v_rcp_f64_e32 v[22:23], v[18:19]
	v_div_scale_f64 v[20:21], vcc, v[16:17], v[10:11], v[16:17]
	v_fma_f64 v[24:25], -v[18:19], v[22:23], 1.0
	v_fmac_f64_e32 v[22:23], v[22:23], v[24:25]
	v_fma_f64 v[24:25], -v[18:19], v[22:23], 1.0
	v_fmac_f64_e32 v[22:23], v[22:23], v[24:25]
	v_mul_f64 v[24:25], v[20:21], v[22:23]
	v_fma_f64 v[18:19], -v[18:19], v[24:25], v[20:21]
	v_div_fmas_f64 v[18:19], v[18:19], v[22:23], v[24:25]
	v_div_fixup_f64 v[10:11], v[18:19], v[10:11], v[16:17]
	v_add_f64 v[10:11], v[14:15], -v[10:11]
	v_cmp_gt_f64_e64 s[52:53], v[10:11], -v[6:7]
	v_cmp_le_f64_e32 vcc, v[10:11], v[6:7]
	s_nop 1
	v_addc_co_u32_e64 v9, s[6:7], 0, v9, vcc
	s_and_b64 vcc, vcc, s[52:53]
	s_add_u32 s48, s48, 8
	s_addc_u32 s49, s49, 0
	s_add_u32 s50, s50, 8
	s_addc_u32 s51, s51, 0
	v_cndmask_b32_e32 v11, v11, v1, vcc
	s_cmp_lg_u32 s11, 0
	v_cndmask_b32_e32 v10, v10, v6, vcc
	s_cbranch_scc1 .LBB6_89
.LBB6_90:
	v_mov_b32_e32 v1, 0
	global_store_dwordx4 v1, v[2:5], s[8:9]
	global_store_dwordx2 v1, v[8:9], s[14:15]
.LBB6_91:
	s_or_b64 exec, exec, s[38:39]
	v_add_u32_e32 v4, 1, v0
	v_cmp_gt_i32_e32 vcc, s33, v4
	s_and_saveexec_b64 s[38:39], vcc
	s_cbranch_execz .LBB6_98
; %bb.92:
	s_add_u32 s6, s44, s42
	s_addc_u32 s7, s45, s43
	s_add_u32 s6, s36, s6
	s_addc_u32 s7, s37, s7
	;; [unrolled: 2-line block ×3, first 2 shown]
	s_mov_b64 s[50:51], 0
	v_mov_b32_e32 v5, 0
	v_xor_b32_e32 v16, 0x80000000, v7
.LBB6_93:                               ; =>This Loop Header: Depth=1
                                        ;     Child Loop BB6_94 Depth 2
                                        ;     Child Loop BB6_96 Depth 2
	v_lshlrev_b64 v[0:1], 3, v[4:5]
	v_lshl_add_u64 v[8:9], s[46:47], 0, v[0:1]
	v_lshl_add_u64 v[0:1], s[22:23], 0, v[0:1]
	global_load_dwordx4 v[12:15], v[0:1], off offset:-8
	global_load_dwordx2 v[2:3], v[8:9], off
	global_load_dwordx2 v[10:11], v5, s[46:47]
	s_mov_b32 s11, 1
	s_mov_b64 s[52:53], s[18:19]
	s_mov_b64 s[54:55], s[48:49]
	s_waitcnt vmcnt(2)
	v_add_f64 v[12:13], |v[14:15]|, |v[12:13]|
	s_waitcnt vmcnt(1)
	v_add_f64 v[0:1], v[2:3], -v[12:13]
	s_waitcnt vmcnt(0)
	v_add_f64 v[14:15], v[10:11], -v[0:1]
	v_cmp_le_f64_e32 vcc, v[14:15], v[6:7]
	v_cmp_gt_f64_e64 s[6:7], v[14:15], -v[6:7]
	s_nop 0
	v_cndmask_b32_e64 v8, 0, 1, vcc
	s_and_b64 vcc, vcc, s[6:7]
	v_cndmask_b32_e32 v15, v15, v16, vcc
	v_cndmask_b32_e32 v14, v14, v6, vcc
.LBB6_94:                               ;   Parent Loop BB6_93 Depth=1
                                        ; =>  This Inner Loop Header: Depth=2
	global_load_dwordx2 v[18:19], v5, s[54:55]
	global_load_dwordx2 v[20:21], v5, s[52:53]
	s_add_i32 s11, s11, 1
	s_waitcnt vmcnt(1)
	v_add_f64 v[18:19], v[18:19], -v[0:1]
	s_waitcnt vmcnt(0)
	v_div_scale_f64 v[22:23], s[6:7], v[14:15], v[14:15], v[20:21]
	v_rcp_f64_e32 v[26:27], v[22:23]
	v_div_scale_f64 v[24:25], vcc, v[20:21], v[14:15], v[20:21]
	v_fma_f64 v[28:29], -v[22:23], v[26:27], 1.0
	v_fmac_f64_e32 v[26:27], v[26:27], v[28:29]
	v_fma_f64 v[28:29], -v[22:23], v[26:27], 1.0
	v_fmac_f64_e32 v[26:27], v[26:27], v[28:29]
	v_mul_f64 v[28:29], v[24:25], v[26:27]
	v_fma_f64 v[22:23], -v[22:23], v[28:29], v[24:25]
	v_div_fmas_f64 v[22:23], v[22:23], v[26:27], v[28:29]
	v_div_fixup_f64 v[14:15], v[22:23], v[14:15], v[20:21]
	v_add_f64 v[14:15], v[18:19], -v[14:15]
	v_cmp_gt_f64_e64 s[56:57], v[14:15], -v[6:7]
	v_cmp_le_f64_e32 vcc, v[14:15], v[6:7]
	s_nop 1
	v_addc_co_u32_e64 v8, s[6:7], 0, v8, vcc
	s_and_b64 vcc, vcc, s[56:57]
	s_add_u32 s54, s54, 8
	s_addc_u32 s55, s55, 0
	s_add_u32 s52, s52, 8
	s_addc_u32 s53, s53, 0
	v_cndmask_b32_e32 v15, v15, v16, vcc
	s_cmp_lg_u32 s35, s11
	v_cndmask_b32_e32 v14, v14, v6, vcc
	s_cbranch_scc1 .LBB6_94
; %bb.95:                               ;   in Loop: Header=BB6_93 Depth=1
	v_add_f64 v[2:3], v[2:3], v[12:13]
	v_add_f64 v[10:11], v[10:11], -v[2:3]
	v_cmp_le_f64_e32 vcc, v[10:11], v[6:7]
	v_cmp_gt_f64_e64 s[6:7], v[10:11], -v[6:7]
	s_mov_b64 s[52:53], s[18:19]
	v_cndmask_b32_e64 v9, 0, 1, vcc
	s_and_b64 vcc, vcc, s[6:7]
	v_cndmask_b32_e32 v11, v11, v16, vcc
	v_cndmask_b32_e32 v10, v10, v6, vcc
	s_mov_b64 s[54:55], s[48:49]
	s_mov_b32 s11, s33
.LBB6_96:                               ;   Parent Loop BB6_93 Depth=1
                                        ; =>  This Inner Loop Header: Depth=2
	global_load_dwordx2 v[12:13], v5, s[54:55]
	global_load_dwordx2 v[14:15], v5, s[52:53]
	s_add_i32 s11, s11, -1
	s_waitcnt vmcnt(1)
	v_add_f64 v[12:13], v[12:13], -v[2:3]
	s_waitcnt vmcnt(0)
	v_div_scale_f64 v[18:19], s[6:7], v[10:11], v[10:11], v[14:15]
	v_rcp_f64_e32 v[22:23], v[18:19]
	v_div_scale_f64 v[20:21], vcc, v[14:15], v[10:11], v[14:15]
	v_fma_f64 v[24:25], -v[18:19], v[22:23], 1.0
	v_fmac_f64_e32 v[22:23], v[22:23], v[24:25]
	v_fma_f64 v[24:25], -v[18:19], v[22:23], 1.0
	v_fmac_f64_e32 v[22:23], v[22:23], v[24:25]
	v_mul_f64 v[24:25], v[20:21], v[22:23]
	v_fma_f64 v[18:19], -v[18:19], v[24:25], v[20:21]
	v_div_fmas_f64 v[18:19], v[18:19], v[22:23], v[24:25]
	v_div_fixup_f64 v[10:11], v[18:19], v[10:11], v[14:15]
	v_add_f64 v[10:11], v[12:13], -v[10:11]
	v_cmp_gt_f64_e64 s[56:57], v[10:11], -v[6:7]
	v_cmp_le_f64_e32 vcc, v[10:11], v[6:7]
	s_nop 1
	v_addc_co_u32_e64 v9, s[6:7], 0, v9, vcc
	s_and_b64 vcc, vcc, s[56:57]
	s_add_u32 s54, s54, 8
	s_addc_u32 s55, s55, 0
	s_add_u32 s52, s52, 8
	s_addc_u32 s53, s53, 0
	v_cndmask_b32_e32 v11, v11, v16, vcc
	s_cmp_lg_u32 s11, 0
	v_cndmask_b32_e32 v10, v10, v6, vcc
	s_cbranch_scc1 .LBB6_96
; %bb.97:                               ;   in Loop: Header=BB6_93 Depth=1
	v_lshlrev_b32_e32 v10, 1, v4
	v_add_u32_e32 v4, 0x100, v4
	v_mov_b32_e32 v11, v5
	v_cmp_le_i32_e32 vcc, s33, v4
	v_lshl_add_u64 v[12:13], v[10:11], 3, s[8:9]
	v_lshl_add_u64 v[10:11], v[10:11], 2, s[14:15]
	s_or_b64 s[50:51], vcc, s[50:51]
	global_store_dwordx4 v[12:13], v[0:3], off
	global_store_dwordx2 v[10:11], v[8:9], off
	s_andn2_b64 exec, exec, s[50:51]
	s_cbranch_execnz .LBB6_93
.LBB6_98:
	s_or_b64 exec, exec, s[38:39]
	s_and_saveexec_b64 s[6:7], s[4:5]
	s_cbranch_execz .LBB6_106
; %bb.99:
	s_ashr_i32 s5, s35, 31
	s_mov_b32 s4, s35
	s_lshl_b64 s[4:5], s[4:5], 3
	s_add_u32 s38, s46, s4
	s_addc_u32 s39, s47, s5
	s_add_u32 s4, s22, s4
	v_mov_b32_e32 v5, 0
	s_addc_u32 s5, s23, s5
	global_load_dwordx2 v[2:3], v5, s[4:5] offset:-16
	global_load_dwordx2 v[8:9], v5, s[38:39] offset:-8
	global_load_dwordx2 v[10:11], v5, s[46:47]
	s_cmp_gt_i32 s35, 1
	s_cselect_b64 s[22:23], -1, 0
	s_cmp_lt_i32 s35, 2
	s_waitcnt vmcnt(2)
	v_and_b32_e32 v14, 0x7fffffff, v3
	s_waitcnt vmcnt(1)
	v_add_f64 v[0:1], v[8:9], -|v[2:3]|
	s_waitcnt vmcnt(0)
	v_add_f64 v[12:13], v[10:11], -v[0:1]
	v_cmp_le_f64_e32 vcc, v[12:13], v[6:7]
	s_nop 1
	v_cndmask_b32_e64 v4, 0, 1, vcc
	s_cbranch_scc1 .LBB6_102
; %bb.100:
	v_cmp_gt_f64_e64 s[4:5], v[12:13], -v[6:7]
	s_and_b64 vcc, vcc, s[4:5]
	s_add_u32 s4, s44, s42
	s_addc_u32 s5, s45, s43
	s_add_u32 s4, s36, s4
	s_addc_u32 s5, s37, s5
	v_xor_b32_e32 v3, 0x80000000, v7
	s_add_u32 s38, s4, 8
	v_cndmask_b32_e32 v13, v13, v3, vcc
	v_cndmask_b32_e32 v12, v12, v6, vcc
	s_addc_u32 s39, s5, 0
	s_mov_b64 s[46:47], s[18:19]
	s_mov_b32 s11, s33
.LBB6_101:                              ; =>This Inner Loop Header: Depth=1
	global_load_dwordx2 v[16:17], v5, s[38:39]
	global_load_dwordx2 v[18:19], v5, s[46:47]
	s_add_i32 s11, s11, -1
	s_waitcnt vmcnt(1)
	v_add_f64 v[16:17], v[16:17], -v[0:1]
	s_waitcnt vmcnt(0)
	v_div_scale_f64 v[20:21], s[4:5], v[12:13], v[12:13], v[18:19]
	v_rcp_f64_e32 v[24:25], v[20:21]
	v_div_scale_f64 v[22:23], vcc, v[18:19], v[12:13], v[18:19]
	v_fma_f64 v[26:27], -v[20:21], v[24:25], 1.0
	v_fmac_f64_e32 v[24:25], v[24:25], v[26:27]
	v_fma_f64 v[26:27], -v[20:21], v[24:25], 1.0
	v_fmac_f64_e32 v[24:25], v[24:25], v[26:27]
	v_mul_f64 v[26:27], v[22:23], v[24:25]
	v_fma_f64 v[20:21], -v[20:21], v[26:27], v[22:23]
	v_div_fmas_f64 v[20:21], v[20:21], v[24:25], v[26:27]
	v_div_fixup_f64 v[12:13], v[20:21], v[12:13], v[18:19]
	v_add_f64 v[12:13], v[16:17], -v[12:13]
	v_cmp_gt_f64_e64 s[48:49], v[12:13], -v[6:7]
	v_cmp_le_f64_e32 vcc, v[12:13], v[6:7]
	s_nop 1
	v_addc_co_u32_e64 v4, s[4:5], 0, v4, vcc
	s_and_b64 vcc, vcc, s[48:49]
	s_add_u32 s38, s38, 8
	s_addc_u32 s39, s39, 0
	s_add_u32 s46, s46, 8
	s_addc_u32 s47, s47, 0
	v_cndmask_b32_e32 v13, v13, v3, vcc
	s_cmp_lg_u32 s11, 0
	v_cndmask_b32_e32 v12, v12, v6, vcc
	s_cbranch_scc1 .LBB6_101
.LBB6_102:
	v_mov_b32_e32 v3, v14
	v_add_f64 v[2:3], v[8:9], v[2:3]
	v_add_f64 v[8:9], v[10:11], -v[2:3]
	v_cmp_le_f64_e64 s[4:5], v[8:9], v[6:7]
	s_andn2_b64 vcc, exec, s[22:23]
	s_nop 0
	v_cndmask_b32_e64 v5, 0, 1, s[4:5]
	s_cbranch_vccnz .LBB6_105
; %bb.103:
	v_cmp_gt_f64_e64 s[22:23], v[8:9], -v[6:7]
	s_and_b64 vcc, s[4:5], s[22:23]
	s_add_u32 s4, s44, s42
	s_addc_u32 s5, s45, s43
	s_add_u32 s4, s36, s4
	s_addc_u32 s5, s37, s5
	v_xor_b32_e32 v10, 0x80000000, v7
	s_add_u32 s22, s4, 8
	v_cndmask_b32_e32 v9, v9, v10, vcc
	v_cndmask_b32_e32 v8, v8, v6, vcc
	s_addc_u32 s23, s5, 0
	v_mov_b32_e32 v11, 0
.LBB6_104:                              ; =>This Inner Loop Header: Depth=1
	global_load_dwordx2 v[12:13], v11, s[22:23]
	global_load_dwordx2 v[14:15], v11, s[18:19]
	s_add_i32 s33, s33, -1
	s_waitcnt vmcnt(1)
	v_add_f64 v[12:13], v[12:13], -v[2:3]
	s_waitcnt vmcnt(0)
	v_div_scale_f64 v[16:17], s[4:5], v[8:9], v[8:9], v[14:15]
	v_rcp_f64_e32 v[20:21], v[16:17]
	v_div_scale_f64 v[18:19], vcc, v[14:15], v[8:9], v[14:15]
	v_fma_f64 v[22:23], -v[16:17], v[20:21], 1.0
	v_fmac_f64_e32 v[20:21], v[20:21], v[22:23]
	v_fma_f64 v[22:23], -v[16:17], v[20:21], 1.0
	v_fmac_f64_e32 v[20:21], v[20:21], v[22:23]
	v_mul_f64 v[22:23], v[18:19], v[20:21]
	v_fma_f64 v[16:17], -v[16:17], v[22:23], v[18:19]
	v_div_fmas_f64 v[16:17], v[16:17], v[20:21], v[22:23]
	v_div_fixup_f64 v[8:9], v[16:17], v[8:9], v[14:15]
	v_add_f64 v[8:9], v[12:13], -v[8:9]
	v_cmp_gt_f64_e64 s[36:37], v[8:9], -v[6:7]
	v_cmp_le_f64_e32 vcc, v[8:9], v[6:7]
	s_nop 1
	v_addc_co_u32_e64 v5, s[4:5], 0, v5, vcc
	s_and_b64 vcc, vcc, s[36:37]
	s_add_u32 s22, s22, 8
	s_addc_u32 s23, s23, 0
	s_add_u32 s18, s18, 8
	s_addc_u32 s19, s19, 0
	v_cndmask_b32_e32 v9, v9, v10, vcc
	s_cmp_lg_u32 s33, 0
	v_cndmask_b32_e32 v8, v8, v6, vcc
	s_cbranch_scc1 .LBB6_104
.LBB6_105:
	s_ashr_i32 s11, s10, 31
	s_lshl_b64 s[4:5], s[10:11], 3
	s_add_u32 s4, s8, s4
	s_addc_u32 s5, s9, s5
	s_lshl_b64 s[18:19], s[10:11], 2
	v_mov_b32_e32 v8, 0
	s_add_u32 s18, s14, s18
	s_addc_u32 s19, s15, s19
	global_store_dwordx4 v8, v[0:3], s[4:5] offset:-16
	global_store_dwordx2 v8, v[4:5], s[18:19] offset:-8
.LBB6_106:
	s_or_b64 exec, exec, s[6:7]
	s_mov_b64 s[18:19], 0
	s_barrier
                                        ; implicit-def: $vgpr4_vgpr5
                                        ; implicit-def: $vgpr2_vgpr3
	s_and_saveexec_b64 s[6:7], s[2:3]
	s_cbranch_execz .LBB6_130
; %bb.107:
	s_cmp_gt_i32 s35, 0
	s_cselect_b64 s[18:19], -1, 0
	s_cmp_lt_i32 s35, 1
	s_mov_b32 s22, 1
	s_cbranch_scc1 .LBB6_115
; %bb.108:
	s_cmp_lg_u64 s[28:29], 0
	s_cselect_b64 s[4:5], -1, 0
	s_add_u32 s11, s26, s16
	s_addc_u32 s17, s27, s17
	s_add_u32 s16, s11, 8
	v_cndmask_b32_e64 v0, 0, 1, s[4:5]
	s_addc_u32 s17, s17, 0
	v_mov_b32_e32 v4, 0
	v_cmp_ne_u32_e64 s[4:5], 1, v0
	s_branch .LBB6_110
.LBB6_109:                              ;   in Loop: Header=BB6_110 Depth=1
	s_add_i32 s22, s22, 1
	s_add_u32 s16, s16, 8
	s_addc_u32 s17, s17, 0
	s_cmp_lg_u32 s22, s10
	s_cbranch_scc0 .LBB6_115
.LBB6_110:                              ; =>This Loop Header: Depth=1
                                        ;     Child Loop BB6_111 Depth 2
	s_ashr_i32 s23, s22, 31
	s_add_i32 s11, s22, -1
	s_lshl_b64 s[26:27], s[22:23], 3
	s_add_u32 s36, s8, s26
	s_addc_u32 s37, s9, s27
	global_load_dwordx2 v[0:1], v4, s[36:37] offset:-8
	s_mov_b64 s[38:39], s[16:17]
	s_mov_b32 s27, s22
	s_mov_b32 s26, s11
	s_waitcnt vmcnt(0)
	v_mov_b64_e32 v[2:3], v[0:1]
.LBB6_111:                              ;   Parent Loop BB6_110 Depth=1
                                        ; =>  This Inner Loop Header: Depth=2
	global_load_dwordx2 v[8:9], v4, s[38:39]
	s_waitcnt vmcnt(0)
	v_cmp_lt_f64_e32 vcc, v[8:9], v[2:3]
	s_and_b64 s[42:43], vcc, exec
	s_cselect_b32 s26, s27, s26
	s_add_i32 s27, s27, 1
	s_add_u32 s38, s38, 8
	s_addc_u32 s39, s39, 0
	v_cndmask_b32_e32 v3, v3, v9, vcc
	s_cmp_eq_u32 s10, s27
	v_cndmask_b32_e32 v2, v2, v8, vcc
	s_cbranch_scc0 .LBB6_111
; %bb.112:                              ;   in Loop: Header=BB6_110 Depth=1
	s_cmp_lg_u32 s26, s11
	s_cbranch_scc0 .LBB6_109
; %bb.113:                              ;   in Loop: Header=BB6_110 Depth=1
	s_ashr_i32 s27, s26, 31
	s_lshl_b64 s[38:39], s[26:27], 3
	s_add_u32 s38, s8, s38
	s_addc_u32 s39, s9, s39
	s_and_b64 vcc, exec, s[4:5]
	global_store_dwordx2 v4, v[0:1], s[38:39]
	global_store_dwordx2 v4, v[2:3], s[36:37] offset:-8
	s_cbranch_vccnz .LBB6_109
; %bb.114:                              ;   in Loop: Header=BB6_110 Depth=1
	s_lshl_b64 s[36:37], s[22:23], 2
	s_add_u32 s36, s14, s36
	s_addc_u32 s37, s15, s37
	s_lshl_b64 s[26:27], s[26:27], 2
	s_add_u32 s26, s14, s26
	s_addc_u32 s27, s15, s27
	global_load_dword v0, v4, s[36:37] offset:-4
	global_load_dword v1, v4, s[26:27]
	s_waitcnt vmcnt(1)
	global_store_dword v4, v0, s[26:27]
	s_waitcnt vmcnt(1)
	global_store_dword v4, v1, s[36:37] offset:-4
	s_branch .LBB6_109
.LBB6_115:
	s_ashr_i32 s11, s10, 31
	s_lshl_b64 s[4:5], s[10:11], 3
	v_mov_b32_e32 v0, 0
	s_add_u32 s16, s8, s4
	s_addc_u32 s17, s9, s5
	global_load_dwordx2 v[2:3], v0, s[8:9]
	global_load_dwordx2 v[4:5], v0, s[16:17] offset:-8
	s_load_dwordx2 s[14:15], s[0:1], 0x18
	v_cvt_f64_i32_e32 v[8:9], s35
	v_cndmask_b32_e64 v1, 0, 1, s[18:19]
	v_cmp_ne_u32_e64 s[0:1], 1, v1
	s_andn2_b64 vcc, exec, s[18:19]
	s_waitcnt vmcnt(0)
	v_cmp_lt_f64_e64 s[4:5], |v[2:3]|, |v[4:5]|
	s_nop 1
	v_cndmask_b32_e64 v11, v3, v5, s[4:5]
	v_cndmask_b32_e64 v10, v2, v4, s[4:5]
	v_mul_f64 v[10:11], s[30:31], |v[10:11]|
	v_fma_f64 v[2:3], -v[10:11], v[8:9], v[2:3]
	v_fmac_f64_e32 v[4:5], v[10:11], v[8:9]
	v_add_f64 v[2:3], v[2:3], -v[6:7]
	v_add_f64 v[4:5], v[6:7], v[4:5]
	global_store_dwordx2 v0, v[2:3], s[8:9]
	global_store_dwordx2 v0, v[4:5], s[16:17] offset:-8
	s_cbranch_vccnz .LBB6_121
; %bb.116:
	s_max_i32 s11, s10, 2
	s_add_i32 s11, s11, -1
	s_add_u32 s4, s28, s12
	s_addc_u32 s5, s29, s13
	s_add_u32 s4, s4, 4
	s_addc_u32 s5, s5, 0
	s_mov_b32 s17, 0
	s_branch .LBB6_118
.LBB6_117:                              ;   in Loop: Header=BB6_118 Depth=1
	s_add_i32 s17, s17, 1
	s_add_u32 s4, s4, 4
	s_addc_u32 s5, s5, 0
	s_cmp_eq_u32 s11, s17
	s_cselect_b64 s[18:19], -1, 0
	s_mov_b32 s16, s11
	s_andn2_b64 vcc, exec, s[18:19]
	s_cbranch_vccz .LBB6_120
.LBB6_118:                              ; =>This Inner Loop Header: Depth=1
	global_load_dword v1, v0, s[4:5]
	s_mov_b64 s[18:19], -1
	s_waitcnt vmcnt(0) lgkmcnt(0)
	v_cmp_le_i32_e32 vcc, s14, v1
	s_cbranch_vccz .LBB6_117
; %bb.119:                              ;   in Loop: Header=BB6_118 Depth=1
                                        ; implicit-def: $sgpr4_sgpr5
	s_mov_b32 s16, s17
	s_andn2_b64 vcc, exec, s[18:19]
	s_cbranch_vccnz .LBB6_118
.LBB6_120:
	s_mov_b32 s17, 0
	s_branch .LBB6_122
.LBB6_121:
	s_mov_b64 s[16:17], 0
.LBB6_122:
	s_lshl_b64 s[4:5], s[16:17], 3
	s_add_u32 s4, s8, s4
	s_addc_u32 s5, s9, s5
	v_mov_b32_e32 v0, 0
	global_load_dwordx2 v[2:3], v0, s[4:5]
	s_and_b64 vcc, exec, s[0:1]
	s_mov_b32 s5, 1
	s_cbranch_vccnz .LBB6_128
; %bb.123:
	s_waitcnt lgkmcnt(0)
	s_max_i32 s14, s10, 2
	s_add_i32 s16, s14, -1
	s_add_u32 s0, s28, s12
	s_addc_u32 s1, s29, s13
	s_add_u32 s0, s0, 4
	s_addc_u32 s1, s1, 0
	s_branch .LBB6_125
.LBB6_124:                              ;   in Loop: Header=BB6_125 Depth=1
	s_mov_b32 s4, s5
                                        ; implicit-def: $sgpr0_sgpr1
	s_andn2_b64 vcc, exec, s[10:11]
	s_cbranch_vccz .LBB6_127
.LBB6_125:                              ; =>This Inner Loop Header: Depth=1
	global_load_dword v1, v0, s[0:1]
	s_mov_b64 s[10:11], -1
	s_waitcnt vmcnt(0)
	v_cmp_gt_i32_e32 vcc, s15, v1
	s_cbranch_vccz .LBB6_124
; %bb.126:                              ;   in Loop: Header=BB6_125 Depth=1
	s_add_i32 s5, s5, 1
	s_add_u32 s0, s0, 4
	s_addc_u32 s1, s1, 0
	s_cmp_eq_u32 s14, s5
	s_cselect_b64 s[10:11], -1, 0
	s_mov_b32 s4, s16
	s_andn2_b64 vcc, exec, s[10:11]
	s_cbranch_vccnz .LBB6_125
.LBB6_127:
	s_ashr_i32 s5, s4, 31
	s_branch .LBB6_129
.LBB6_128:
	s_mov_b64 s[4:5], 0
.LBB6_129:
	s_lshl_b64 s[0:1], s[4:5], 3
	s_add_u32 s0, s8, s0
	s_addc_u32 s1, s9, s1
	v_mov_b32_e32 v0, 0
	global_load_dwordx2 v[4:5], v0, s[0:1]
	s_mov_b64 s[18:19], exec
.LBB6_130:
	s_or_b64 exec, exec, s[6:7]
.LBB6_131:
	s_and_saveexec_b64 s[0:1], s[18:19]
	s_cbranch_execz .LBB6_134
; %bb.132:
	s_and_b64 exec, exec, s[2:3]
	s_cbranch_execz .LBB6_134
; %bb.133:
	s_lshl_b64 s[0:1], s[40:41], 3
	s_add_u32 s0, s20, s0
	s_addc_u32 s1, s21, s1
	s_lshl_b32 s2, s40, 1
	s_ashr_i32 s3, s2, 31
	s_lshl_b64 s[2:3], s[2:3], 3
	s_add_u32 s2, s24, s2
	s_addc_u32 s3, s25, s3
	s_cmpk_eq_i32 s34, 0xe7
	v_mov_b32_e32 v0, 0
	s_cselect_b64 s[4:5], -1, 0
	s_waitcnt vmcnt(0)
	v_cndmask_b32_e64 v5, v5, 0, s[4:5]
	v_cndmask_b32_e64 v4, v4, 0, s[4:5]
	v_cndmask_b32_e64 v3, v3, 0, s[4:5]
	v_cndmask_b32_e64 v2, v2, 0, s[4:5]
	global_store_dwordx2 v0, v[6:7], s[0:1]
	global_store_dwordx4 v0, v[2:5], s[2:3]
.LBB6_134:
	s_endpgm
	.section	.rodata,"a",@progbits
	.p2align	6, 0x0
	.amdhsa_kernel _ZN9rocsolver6v33100L22stebz_splitting_kernelIdPdEEv15rocblas_erange_iT_S4_iiT0_iiS5_iiPiPS4_lS6_lS6_S7_S7_S7_S7_S6_S4_S4_
		.amdhsa_group_segment_fixed_size 3072
		.amdhsa_private_segment_fixed_size 0
		.amdhsa_kernarg_size 168
		.amdhsa_user_sgpr_count 2
		.amdhsa_user_sgpr_dispatch_ptr 0
		.amdhsa_user_sgpr_queue_ptr 0
		.amdhsa_user_sgpr_kernarg_segment_ptr 1
		.amdhsa_user_sgpr_dispatch_id 0
		.amdhsa_user_sgpr_kernarg_preload_length 0
		.amdhsa_user_sgpr_kernarg_preload_offset 0
		.amdhsa_user_sgpr_private_segment_size 0
		.amdhsa_uses_dynamic_stack 0
		.amdhsa_enable_private_segment 0
		.amdhsa_system_sgpr_workgroup_id_x 1
		.amdhsa_system_sgpr_workgroup_id_y 1
		.amdhsa_system_sgpr_workgroup_id_z 0
		.amdhsa_system_sgpr_workgroup_info 0
		.amdhsa_system_vgpr_workitem_id 0
		.amdhsa_next_free_vgpr 44
		.amdhsa_next_free_sgpr 58
		.amdhsa_accum_offset 44
		.amdhsa_reserve_vcc 1
		.amdhsa_float_round_mode_32 0
		.amdhsa_float_round_mode_16_64 0
		.amdhsa_float_denorm_mode_32 3
		.amdhsa_float_denorm_mode_16_64 3
		.amdhsa_dx10_clamp 1
		.amdhsa_ieee_mode 1
		.amdhsa_fp16_overflow 0
		.amdhsa_tg_split 0
		.amdhsa_exception_fp_ieee_invalid_op 0
		.amdhsa_exception_fp_denorm_src 0
		.amdhsa_exception_fp_ieee_div_zero 0
		.amdhsa_exception_fp_ieee_overflow 0
		.amdhsa_exception_fp_ieee_underflow 0
		.amdhsa_exception_fp_ieee_inexact 0
		.amdhsa_exception_int_div_zero 0
	.end_amdhsa_kernel
	.section	.text._ZN9rocsolver6v33100L22stebz_splitting_kernelIdPdEEv15rocblas_erange_iT_S4_iiT0_iiS5_iiPiPS4_lS6_lS6_S7_S7_S7_S7_S6_S4_S4_,"axG",@progbits,_ZN9rocsolver6v33100L22stebz_splitting_kernelIdPdEEv15rocblas_erange_iT_S4_iiT0_iiS5_iiPiPS4_lS6_lS6_S7_S7_S7_S7_S6_S4_S4_,comdat
.Lfunc_end6:
	.size	_ZN9rocsolver6v33100L22stebz_splitting_kernelIdPdEEv15rocblas_erange_iT_S4_iiT0_iiS5_iiPiPS4_lS6_lS6_S7_S7_S7_S7_S6_S4_S4_, .Lfunc_end6-_ZN9rocsolver6v33100L22stebz_splitting_kernelIdPdEEv15rocblas_erange_iT_S4_iiT0_iiS5_iiPiPS4_lS6_lS6_S7_S7_S7_S7_S6_S4_S4_
                                        ; -- End function
	.set _ZN9rocsolver6v33100L22stebz_splitting_kernelIdPdEEv15rocblas_erange_iT_S4_iiT0_iiS5_iiPiPS4_lS6_lS6_S7_S7_S7_S7_S6_S4_S4_.num_vgpr, 44
	.set _ZN9rocsolver6v33100L22stebz_splitting_kernelIdPdEEv15rocblas_erange_iT_S4_iiT0_iiS5_iiPiPS4_lS6_lS6_S7_S7_S7_S7_S6_S4_S4_.num_agpr, 0
	.set _ZN9rocsolver6v33100L22stebz_splitting_kernelIdPdEEv15rocblas_erange_iT_S4_iiT0_iiS5_iiPiPS4_lS6_lS6_S7_S7_S7_S7_S6_S4_S4_.numbered_sgpr, 58
	.set _ZN9rocsolver6v33100L22stebz_splitting_kernelIdPdEEv15rocblas_erange_iT_S4_iiT0_iiS5_iiPiPS4_lS6_lS6_S7_S7_S7_S7_S6_S4_S4_.num_named_barrier, 0
	.set _ZN9rocsolver6v33100L22stebz_splitting_kernelIdPdEEv15rocblas_erange_iT_S4_iiT0_iiS5_iiPiPS4_lS6_lS6_S7_S7_S7_S7_S6_S4_S4_.private_seg_size, 0
	.set _ZN9rocsolver6v33100L22stebz_splitting_kernelIdPdEEv15rocblas_erange_iT_S4_iiT0_iiS5_iiPiPS4_lS6_lS6_S7_S7_S7_S7_S6_S4_S4_.uses_vcc, 1
	.set _ZN9rocsolver6v33100L22stebz_splitting_kernelIdPdEEv15rocblas_erange_iT_S4_iiT0_iiS5_iiPiPS4_lS6_lS6_S7_S7_S7_S7_S6_S4_S4_.uses_flat_scratch, 0
	.set _ZN9rocsolver6v33100L22stebz_splitting_kernelIdPdEEv15rocblas_erange_iT_S4_iiT0_iiS5_iiPiPS4_lS6_lS6_S7_S7_S7_S7_S6_S4_S4_.has_dyn_sized_stack, 0
	.set _ZN9rocsolver6v33100L22stebz_splitting_kernelIdPdEEv15rocblas_erange_iT_S4_iiT0_iiS5_iiPiPS4_lS6_lS6_S7_S7_S7_S7_S6_S4_S4_.has_recursion, 0
	.set _ZN9rocsolver6v33100L22stebz_splitting_kernelIdPdEEv15rocblas_erange_iT_S4_iiT0_iiS5_iiPiPS4_lS6_lS6_S7_S7_S7_S7_S6_S4_S4_.has_indirect_call, 0
	.section	.AMDGPU.csdata,"",@progbits
; Kernel info:
; codeLenInByte = 6300
; TotalNumSgprs: 64
; NumVgprs: 44
; NumAgprs: 0
; TotalNumVgprs: 44
; ScratchSize: 0
; MemoryBound: 0
; FloatMode: 240
; IeeeMode: 1
; LDSByteSize: 3072 bytes/workgroup (compile time only)
; SGPRBlocks: 7
; VGPRBlocks: 5
; NumSGPRsForWavesPerEU: 64
; NumVGPRsForWavesPerEU: 44
; AccumOffset: 44
; Occupancy: 8
; WaveLimiterHint : 0
; COMPUTE_PGM_RSRC2:SCRATCH_EN: 0
; COMPUTE_PGM_RSRC2:USER_SGPR: 2
; COMPUTE_PGM_RSRC2:TRAP_HANDLER: 0
; COMPUTE_PGM_RSRC2:TGID_X_EN: 1
; COMPUTE_PGM_RSRC2:TGID_Y_EN: 1
; COMPUTE_PGM_RSRC2:TGID_Z_EN: 0
; COMPUTE_PGM_RSRC2:TIDIG_COMP_CNT: 0
; COMPUTE_PGM_RSRC3_GFX90A:ACCUM_OFFSET: 10
; COMPUTE_PGM_RSRC3_GFX90A:TG_SPLIT: 0
	.section	.text._ZN9rocsolver6v33100L22stebz_bisection_kernelIdPdEEv15rocblas_erange_iT_T0_iiS5_iiPiPS4_lS6_lS6_lS6_S6_S7_S7_S7_S7_S6_S4_S4_,"axG",@progbits,_ZN9rocsolver6v33100L22stebz_bisection_kernelIdPdEEv15rocblas_erange_iT_T0_iiS5_iiPiPS4_lS6_lS6_lS6_S6_S7_S7_S7_S7_S6_S4_S4_,comdat
	.globl	_ZN9rocsolver6v33100L22stebz_bisection_kernelIdPdEEv15rocblas_erange_iT_T0_iiS5_iiPiPS4_lS6_lS6_lS6_S6_S7_S7_S7_S7_S6_S4_S4_ ; -- Begin function _ZN9rocsolver6v33100L22stebz_bisection_kernelIdPdEEv15rocblas_erange_iT_T0_iiS5_iiPiPS4_lS6_lS6_lS6_S6_S7_S7_S7_S7_S6_S4_S4_
	.p2align	8
	.type	_ZN9rocsolver6v33100L22stebz_bisection_kernelIdPdEEv15rocblas_erange_iT_T0_iiS5_iiPiPS4_lS6_lS6_lS6_S6_S7_S7_S7_S7_S6_S4_S4_,@function
_ZN9rocsolver6v33100L22stebz_bisection_kernelIdPdEEv15rocblas_erange_iT_T0_iiS5_iiPiPS4_lS6_lS6_lS6_S6_S7_S7_S7_S7_S6_S4_S4_: ; @_ZN9rocsolver6v33100L22stebz_bisection_kernelIdPdEEv15rocblas_erange_iT_T0_iiS5_iiPiPS4_lS6_lS6_lS6_S6_S7_S7_S7_S7_S6_S4_S4_
; %bb.0:
	s_load_dwordx16 s[4:19], s[0:1], 0x30
	s_mov_b32 s30, s3
	s_ashr_i32 s31, s3, 31
	s_lshl_b64 s[34:35], s[30:31], 2
	s_waitcnt lgkmcnt(0)
	s_add_u32 s4, s4, s34
	s_addc_u32 s5, s5, s35
	s_load_dword s33, s[4:5], 0x0
	s_waitcnt lgkmcnt(0)
	s_cmp_ge_i32 s2, s33
	s_cbranch_scc1 .LBB7_91
; %bb.1:
	s_load_dwordx8 s[20:27], s[0:1], 0x8
	s_load_dwordx2 s[28:29], s[0:1], 0x0
	s_load_dwordx2 s[4:5], s[0:1], 0x28
	s_load_dwordx8 s[36:43], s[0:1], 0x90
	s_load_dwordx8 s[44:51], s[0:1], 0x70
	s_waitcnt lgkmcnt(0)
	s_mul_hi_i32 s43, s25, s30
	s_mul_i32 s42, s25, s30
	s_ashr_i32 s1, s24, 31
	s_lshl_b64 s[52:53], s[42:43], 3
	s_mov_b32 s0, s24
	s_add_u32 s3, s22, s52
	s_addc_u32 s24, s23, s53
	s_lshl_b64 s[54:55], s[0:1], 3
	s_add_u32 s62, s3, s54
	s_addc_u32 s63, s24, s55
	s_mul_hi_i32 s25, s5, s30
	s_mul_i32 s24, s5, s30
	s_ashr_i32 s1, s4, 31
	s_lshl_b64 s[56:57], s[24:25], 3
	s_mov_b32 s0, s4
	s_add_u32 s3, s26, s56
	s_addc_u32 s4, s27, s57
	s_lshl_b64 s[58:59], s[0:1], 3
	s_add_u32 s64, s3, s58
	s_mul_i32 s0, s8, s31
	s_mul_hi_u32 s1, s8, s30
	s_addc_u32 s65, s4, s59
	s_add_i32 s0, s1, s0
	s_mul_i32 s1, s9, s30
	s_add_i32 s1, s0, s1
	s_mul_i32 s0, s8, s30
	s_lshl_b64 s[0:1], s[0:1], 3
	s_add_u32 s66, s6, s0
	s_addc_u32 s67, s7, s1
	s_mul_i32 s0, s12, s31
	s_mul_hi_u32 s1, s12, s30
	s_add_i32 s0, s1, s0
	s_mul_i32 s1, s13, s30
	s_add_i32 s1, s0, s1
	s_mul_i32 s0, s12, s30
	s_lshl_b64 s[0:1], s[0:1], 2
	s_add_u32 s68, s10, s0
	s_addc_u32 s69, s11, s1
	s_mul_i32 s0, s16, s31
	s_mul_hi_u32 s1, s16, s30
	s_add_i32 s0, s1, s0
	s_mul_i32 s1, s17, s30
	s_add_i32 s1, s0, s1
	s_mul_i32 s0, s16, s30
	s_lshl_b64 s[0:1], s[0:1], 2
	s_add_u32 s70, s14, s0
	s_addc_u32 s71, s15, s1
	s_add_i32 s0, s29, -1
	s_mul_i32 s0, s0, s30
	s_ashr_i32 s1, s0, 31
	s_lshl_b64 s[0:1], s[0:1], 3
	s_add_u32 s72, s48, s0
	s_addc_u32 s73, s49, s1
	s_lshl_b32 s0, s30, 1
	s_ashr_i32 s1, s0, 31
	s_lshl_b64 s[0:1], s[0:1], 3
	s_add_u32 s16, s50, s0
	s_addc_u32 s17, s51, s1
	s_lshl_b64 s[0:1], s[30:31], 3
	s_add_u32 s0, s46, s0
	s_addc_u32 s1, s47, s1
	s_load_dwordx2 s[24:25], s[0:1], 0x0
	s_add_u32 s18, s18, s34
	s_mul_i32 s0, s29, s30
	s_addc_u32 s19, s19, s35
	s_lshl_b32 s4, s0, 2
	s_ashr_i32 s5, s4, 31
	s_lshl_b64 s[6:7], s[4:5], 3
	s_add_u32 s30, s36, s6
	s_addc_u32 s31, s37, s7
	s_lshl_b64 s[4:5], s[4:5], 2
	s_add_u32 s34, s38, s4
	s_addc_u32 s35, s39, s5
	s_mov_b32 s38, 0x55555555
	s_waitcnt lgkmcnt(0)
	v_frexp_mant_f64_e32 v[2:3], s[24:25]
	s_mov_b32 s39, 0x3fe55555
	v_cmp_gt_f64_e32 vcc, s[38:39], v[2:3]
	s_mov_b32 s42, 0xbf559e2b
	s_mov_b32 s43, 0x3fc3ab76
	v_cndmask_b32_e64 v4, 0, 1, vcc
	v_ldexp_f64 v[2:3], v[2:3], v4
	v_add_f64 v[4:5], v[2:3], 1.0
	v_rcp_f64_e32 v[6:7], v[4:5]
	v_add_f64 v[10:11], v[4:5], -1.0
	v_add_f64 v[8:9], v[2:3], -1.0
	v_add_f64 v[2:3], v[2:3], -v[10:11]
	v_fma_f64 v[10:11], -v[4:5], v[6:7], 1.0
	v_fmac_f64_e32 v[6:7], v[10:11], v[6:7]
	v_fma_f64 v[10:11], -v[4:5], v[6:7], 1.0
	v_fmac_f64_e32 v[6:7], v[10:11], v[6:7]
	v_mul_f64 v[10:11], v[8:9], v[6:7]
	v_mul_f64 v[12:13], v[4:5], v[10:11]
	v_fma_f64 v[4:5], v[10:11], v[4:5], -v[12:13]
	v_fmac_f64_e32 v[4:5], v[10:11], v[2:3]
	v_add_f64 v[2:3], v[12:13], v[4:5]
	v_add_f64 v[14:15], v[8:9], -v[2:3]
	v_add_f64 v[12:13], v[2:3], -v[12:13]
	;; [unrolled: 1-line block ×5, first 2 shown]
	v_add_f64 v[2:3], v[4:5], v[2:3]
	v_add_f64 v[2:3], v[14:15], v[2:3]
	v_mul_f64 v[2:3], v[6:7], v[2:3]
	v_add_f64 v[4:5], v[10:11], v[2:3]
	v_add_f64 v[6:7], v[4:5], -v[10:11]
	v_mov_b32_e32 v14, 0x6b47b09a
	v_mov_b32_e32 v15, 0x3fc38538
	v_add_f64 v[2:3], v[2:3], -v[6:7]
	v_mul_f64 v[6:7], v[4:5], v[4:5]
	v_mov_b64_e32 v[8:9], v[14:15]
	v_mov_b32_e32 v16, 0xd7f4df2e
	v_mov_b32_e32 v17, 0x3fc7474d
	v_fmac_f64_e32 v[8:9], s[42:43], v[6:7]
	v_mov_b64_e32 v[10:11], v[16:17]
	v_mov_b32_e32 v18, 0x16291751
	v_mov_b32_e32 v19, 0x3fcc71c0
	v_fmac_f64_e32 v[10:11], v[6:7], v[8:9]
	;; [unrolled: 4-line block ×5, first 2 shown]
	v_mov_b64_e32 v[10:11], v[24:25]
	v_fmac_f64_e32 v[10:11], v[6:7], v[8:9]
	v_ldexp_f64 v[8:9], v[4:5], 1
	v_mul_f64 v[4:5], v[4:5], v[6:7]
	v_mul_f64 v[4:5], v[4:5], v[10:11]
	v_add_f64 v[6:7], v[8:9], v[4:5]
	v_add_f64 v[8:9], v[6:7], -v[8:9]
	s_ashr_i32 s1, s0, 31
	v_ldexp_f64 v[2:3], v[2:3], 1
	v_add_f64 v[4:5], v[4:5], -v[8:9]
	s_lshl_b64 s[0:1], s[0:1], 2
	v_add_f64 v[2:3], v[2:3], v[4:5]
	s_add_u32 s74, s44, s0
	v_frexp_exp_i32_f64_e32 v1, s[24:25]
	v_add_f64 v[4:5], v[6:7], v[2:3]
	s_addc_u32 s75, s45, s1
	v_subbrev_co_u32_e32 v1, vcc, 0, v1, vcc
	v_add_f64 v[6:7], v[4:5], -v[6:7]
	s_mov_b32 s44, 0xfefa39ef
	v_add_f64 v[2:3], v[2:3], -v[6:7]
	v_cvt_f64_i32_e32 v[6:7], v1
	s_mov_b32 s45, 0x3fe62e42
	v_mul_f64 v[8:9], v[6:7], s[44:45]
	s_mov_b32 s46, 0x3b39803f
	v_fma_f64 v[10:11], v[6:7], s[44:45], -v[8:9]
	s_mov_b32 s47, 0x3c7abc9e
	v_fmac_f64_e32 v[10:11], s[46:47], v[6:7]
	v_add_f64 v[6:7], v[8:9], v[10:11]
	v_add_f64 v[8:9], v[6:7], -v[8:9]
	v_add_f64 v[8:9], v[10:11], -v[8:9]
	v_add_f64 v[10:11], v[6:7], v[4:5]
	v_add_f64 v[12:13], v[10:11], -v[6:7]
	v_add_f64 v[26:27], v[10:11], -v[12:13]
	s_cmpk_lg_i32 s28, 0xe7
	v_add_f64 v[6:7], v[6:7], -v[26:27]
	v_add_f64 v[4:5], v[4:5], -v[12:13]
	s_cselect_b64 s[36:37], -1, 0
	v_add_f64 v[4:5], v[4:5], v[6:7]
	v_add_f64 v[6:7], v[8:9], v[2:3]
	s_add_u32 s3, s52, s54
	v_add_f64 v[12:13], v[6:7], -v[8:9]
	s_addc_u32 s12, s53, s55
	v_add_f64 v[26:27], v[6:7], -v[12:13]
	v_add_f64 v[4:5], v[6:7], v[4:5]
	s_add_u32 s3, s22, s3
	v_add_f64 v[8:9], v[8:9], -v[26:27]
	v_add_f64 v[2:3], v[2:3], -v[12:13]
	v_add_f64 v[6:7], v[10:11], v[4:5]
	s_addc_u32 s12, s23, s12
	v_add_f64 v[2:3], v[2:3], v[8:9]
	v_add_f64 v[8:9], v[6:7], -v[10:11]
	s_add_u32 s76, s3, 8
	v_add_f64 v[4:5], v[4:5], -v[8:9]
	s_addc_u32 s77, s12, 0
	v_add_f64 v[2:3], v[2:3], v[4:5]
	v_mov_b32_e32 v1, 0x204
	s_add_u32 s3, s56, s58
	v_add_f64 v[2:3], v[6:7], v[2:3]
	v_mov_b32_e32 v4, s24
	v_cmp_class_f64_e32 vcc, s[24:25], v1
	v_mov_b32_e32 v1, s25
	s_addc_u32 s12, s57, s59
	v_cndmask_b32_e32 v2, v2, v4, vcc
	v_cndmask_b32_e32 v3, v3, v1, vcc
	v_mov_b32_e32 v1, 0x7ff80000
	v_cmp_nlt_f64_e64 vcc, s[24:25], 0
	s_add_u32 s3, s26, s3
	s_addc_u32 s12, s27, s12
	v_cndmask_b32_e32 v3, v1, v3, vcc
	v_cmp_nle_f64_e64 vcc, s[24:25], 0
	v_mov_b32_e32 v32, 0xfff00000
	v_mov_b32_e32 v33, 0x1800
	v_cndmask_b32_e32 v26, 0, v2, vcc
	v_cmp_neq_f64_e64 vcc, s[24:25], 0
	v_mov_b32_e32 v2, 0x1000
	v_and_b32_e32 v37, 0x7c, v0
	s_add_u32 s78, s3, 8
	v_cmp_lt_f64_e64 s[0:1], s[20:21], 0
	v_cmp_eq_u32_e64 s[4:5], 0, v0
	v_cmp_ne_u32_e64 s[6:7], 0, v0
	s_movk_i32 s28, 0x204
	v_cndmask_b32_e32 v27, v32, v3, vcc
	v_lshl_or_b32 v34, v0, 2, v33
	v_lshlrev_b32_e32 v35, 5, v0
	v_lshl_or_b32 v36, v0, 4, v2
	v_add_f64 v[28:29], s[40:41], s[40:41]
	v_cmp_lt_u32_e64 s[8:9], 3, v0
	v_cmp_ne_u32_e64 s[10:11], v0, v37
	s_addc_u32 s79, s12, 0
	v_mov_b32_e32 v38, 0
	v_mov_b32_e32 v39, 1
                                        ; implicit-def: $sgpr80
                                        ; implicit-def: $sgpr81
                                        ; implicit-def: $sgpr82
                                        ; implicit-def: $sgpr83
                                        ; implicit-def: $vgpr40
	s_branch .LBB7_4
.LBB7_2:                                ;   in Loop: Header=BB7_4 Depth=1
	s_or_b64 exec, exec, s[12:13]
	v_mov_b32_e32 v5, v40
	s_mov_b32 s84, s83
	s_mov_b32 s3, s82
	s_mov_b32 s85, s81
	s_mov_b32 s23, s80
.LBB7_3:                                ;   in Loop: Header=BB7_4 Depth=1
	s_add_i32 s2, s2, 64
	s_cmp_lt_i32 s2, s33
	s_mov_b32 s80, s23
	s_mov_b32 s81, s85
	s_mov_b32 s82, s3
	s_mov_b32 s83, s84
	v_mov_b32_e32 v40, v5
	s_barrier
	s_cbranch_scc0 .LBB7_91
.LBB7_4:                                ; =>This Loop Header: Depth=1
                                        ;     Child Loop BB7_9 Depth 2
                                        ;     Child Loop BB7_20 Depth 2
	;; [unrolled: 1-line block ×4, first 2 shown]
                                        ;       Child Loop BB7_37 Depth 3
                                        ;         Child Loop BB7_40 Depth 4
                                        ;         Child Loop BB7_54 Depth 4
	;; [unrolled: 1-line block ×3, first 2 shown]
                                        ;     Child Loop BB7_75 Depth 2
                                        ;       Child Loop BB7_77 Depth 3
	s_ashr_i32 s3, s2, 31
	s_cmp_eq_u32 s2, 0
	s_mov_b32 s22, 0
	s_cbranch_scc1 .LBB7_6
; %bb.5:                                ;   in Loop: Header=BB7_4 Depth=1
	s_lshl_b64 s[12:13], s[2:3], 2
	s_add_u32 s12, s70, s12
	s_addc_u32 s13, s71, s13
	global_load_dword v2, v38, s[12:13] offset:-4
	s_waitcnt vmcnt(0)
	v_readfirstlane_b32 s22, v2
.LBB7_6:                                ;   in Loop: Header=BB7_4 Depth=1
	s_lshl_b64 s[26:27], s[2:3], 2
	s_add_u32 s12, s70, s26
	s_addc_u32 s13, s71, s27
	global_load_dword v2, v38, s[12:13]
	s_waitcnt vmcnt(0)
	v_readfirstlane_b32 s85, v2
	s_sub_i32 s50, s85, s22
	s_cmp_lg_u32 s50, 1
	s_cbranch_scc0 .LBB7_69
; %bb.7:                                ;   in Loop: Header=BB7_4 Depth=1
	s_ashr_i32 s23, s22, 31
	s_lshl_b64 s[52:53], s[22:23], 3
	s_add_u32 s48, s62, s52
	s_addc_u32 s49, s63, s53
	s_add_u32 s12, s64, s52
	s_addc_u32 s13, s65, s53
	global_load_dwordx2 v[4:5], v38, s[12:13]
	global_load_dwordx2 v[10:11], v38, s[48:49]
	s_cmp_lt_i32 s50, 3
	s_waitcnt vmcnt(1)
	v_and_b32_e32 v7, 0x7fffffff, v5
	v_mov_b32_e32 v6, v4
	s_waitcnt vmcnt(0)
	v_add_f64 v[2:3], v[10:11], -|v[4:5]|
	v_add_f64 v[4:5], v[10:11], |v[4:5]|
	s_cbranch_scc1 .LBB7_10
; %bb.8:                                ;   in Loop: Header=BB7_4 Depth=1
	s_add_i32 s3, s50, -2
	s_add_u32 s14, s76, s52
	s_addc_u32 s15, s77, s53
	s_add_u32 s54, s78, s52
	s_addc_u32 s55, s79, s53
.LBB7_9:                                ;   Parent Loop BB7_4 Depth=1
                                        ; =>  This Inner Loop Header: Depth=2
	global_load_dwordx2 v[8:9], v38, s[14:15]
	global_load_dwordx2 v[12:13], v38, s[54:55]
	s_add_i32 s3, s3, -1
	v_mov_b64_e32 v[30:31], v[6:7]
	s_add_u32 s14, s14, 8
	s_addc_u32 s15, s15, 0
	s_add_u32 s54, s54, 8
	s_addc_u32 s55, s55, 0
	s_cmp_lg_u32 s3, 0
	s_waitcnt vmcnt(1)
	v_add_f64 v[42:43], v[8:9], -v[30:31]
	v_add_f64 v[8:9], v[30:31], v[8:9]
	s_waitcnt vmcnt(0)
	v_add_f64 v[30:31], v[42:43], -|v[12:13]|
	v_add_f64 v[8:9], v[8:9], |v[12:13]|
	v_cmp_lt_f64_e32 vcc, v[30:31], v[2:3]
	v_cmp_lt_f64_e64 s[12:13], v[4:5], v[8:9]
	v_and_b32_e32 v7, 0x7fffffff, v13
	v_mov_b32_e32 v6, v12
	v_cndmask_b32_e32 v3, v3, v31, vcc
	v_cndmask_b32_e64 v5, v5, v9, s[12:13]
	v_cndmask_b32_e32 v2, v2, v30, vcc
	v_cndmask_b32_e64 v4, v4, v8, s[12:13]
	s_cbranch_scc1 .LBB7_9
.LBB7_10:                               ;   in Loop: Header=BB7_4 Depth=1
	s_ashr_i32 s51, s50, 31
	s_lshl_b64 s[12:13], s[50:51], 3
	s_add_u32 s12, s48, s12
	s_addc_u32 s13, s49, s13
	global_load_dwordx2 v[8:9], v38, s[12:13] offset:-8
	v_cvt_f64_i32_e32 v[12:13], s50
	s_andn2_b64 vcc, exec, s[36:37]
	s_waitcnt vmcnt(0)
	v_add_f64 v[30:31], v[8:9], -v[6:7]
	v_add_f64 v[6:7], v[6:7], v[8:9]
	v_cmp_lt_f64_e64 s[12:13], v[30:31], v[2:3]
	v_cmp_lt_f64_e64 s[14:15], v[4:5], v[6:7]
	s_nop 0
	v_cndmask_b32_e64 v9, v3, v31, s[12:13]
	v_cndmask_b32_e64 v5, v5, v7, s[14:15]
	;; [unrolled: 1-line block ×4, first 2 shown]
	v_cmp_lt_f64_e64 s[12:13], |v[8:9]|, |v[4:5]|
	s_nop 1
	v_cndmask_b32_e64 v3, v9, v5, s[12:13]
	v_cndmask_b32_e64 v2, v8, v4, s[12:13]
	v_mul_f64 v[2:3], s[40:41], |v[2:3]|
	v_fma_f64 v[6:7], -v[2:3], v[12:13], v[8:9]
	v_fmac_f64_e32 v[4:5], v[2:3], v[12:13]
	v_add_f64 v[6:7], v[6:7], -s[24:25]
	v_add_f64 v[8:9], s[24:25], v[4:5]
	s_cbranch_vccnz .LBB7_12
; %bb.11:                               ;   in Loop: Header=BB7_4 Depth=1
	global_load_dwordx4 v[42:45], v38, s[16:17]
	s_waitcnt vmcnt(0)
	v_cmp_lt_f64_e32 vcc, v[6:7], v[42:43]
	v_cmp_lt_f64_e64 s[12:13], v[44:45], v[8:9]
	s_nop 0
	v_cndmask_b32_e32 v7, v7, v43, vcc
	v_cndmask_b32_e32 v6, v6, v42, vcc
	v_cndmask_b32_e64 v9, v9, v45, s[12:13]
	v_cndmask_b32_e64 v8, v8, v44, s[12:13]
.LBB7_12:                               ;   in Loop: Header=BB7_4 Depth=1
	v_cmp_nlt_f64_e32 vcc, v[6:7], v[8:9]
	s_mov_b64 s[12:13], -1
	s_cbranch_vccz .LBB7_16
; %bb.13:                               ;   in Loop: Header=BB7_4 Depth=1
	s_and_saveexec_b64 s[12:13], s[4:5]
	s_cbranch_execz .LBB7_15
; %bb.14:                               ;   in Loop: Header=BB7_4 Depth=1
	s_add_u32 s14, s74, s26
	s_addc_u32 s15, s75, s27
	ds_write_b16 v38, v38 offset:6660
	global_store_dword v38, v38, s[14:15]
.LBB7_15:                               ;   in Loop: Header=BB7_4 Depth=1
	s_or_b64 exec, exec, s[12:13]
	s_mov_b64 s[12:13], 0
.LBB7_16:                               ;   in Loop: Header=BB7_4 Depth=1
	s_andn2_b64 vcc, exec, s[12:13]
	v_mov_b32_e32 v5, v40
	s_mov_b32 s84, s83
	s_mov_b32 s3, s82
	s_mov_b32 s23, s80
	s_cbranch_vccnz .LBB7_29
; %bb.17:                               ;   in Loop: Header=BB7_4 Depth=1
	v_add_f64 v[4:5], v[8:9], -v[6:7]
	v_add_f64 v[4:5], s[24:25], v[4:5]
	v_frexp_mant_f64_e32 v[12:13], v[4:5]
	v_cmp_gt_f64_e32 vcc, s[38:39], v[12:13]
	v_frexp_exp_i32_f64_e32 v30, v[4:5]
	s_nop 0
	v_cndmask_b32_e64 v31, 0, 1, vcc
	v_ldexp_f64 v[12:13], v[12:13], v31
	v_subbrev_co_u32_e32 v41, vcc, 0, v30, vcc
	v_add_f64 v[30:31], v[12:13], 1.0
	v_rcp_f64_e32 v[42:43], v[30:31]
	v_add_f64 v[46:47], v[30:31], -1.0
	v_add_f64 v[44:45], v[12:13], -1.0
	v_add_f64 v[12:13], v[12:13], -v[46:47]
	v_fma_f64 v[46:47], -v[30:31], v[42:43], 1.0
	v_fmac_f64_e32 v[42:43], v[46:47], v[42:43]
	v_fma_f64 v[46:47], -v[30:31], v[42:43], 1.0
	v_fmac_f64_e32 v[42:43], v[46:47], v[42:43]
	v_mul_f64 v[46:47], v[44:45], v[42:43]
	v_mul_f64 v[48:49], v[30:31], v[46:47]
	v_fma_f64 v[30:31], v[46:47], v[30:31], -v[48:49]
	v_fmac_f64_e32 v[30:31], v[46:47], v[12:13]
	v_add_f64 v[12:13], v[48:49], v[30:31]
	v_add_f64 v[50:51], v[44:45], -v[12:13]
	v_add_f64 v[48:49], v[12:13], -v[48:49]
	;; [unrolled: 1-line block ×5, first 2 shown]
	v_add_f64 v[12:13], v[30:31], v[12:13]
	v_add_f64 v[12:13], v[50:51], v[12:13]
	v_mul_f64 v[12:13], v[42:43], v[12:13]
	v_add_f64 v[30:31], v[46:47], v[12:13]
	v_add_f64 v[42:43], v[30:31], -v[46:47]
	v_add_f64 v[12:13], v[12:13], -v[42:43]
	v_mul_f64 v[42:43], v[30:31], v[30:31]
	v_mov_b64_e32 v[44:45], v[14:15]
	v_fmac_f64_e32 v[44:45], s[42:43], v[42:43]
	v_mov_b64_e32 v[46:47], v[16:17]
	v_fmac_f64_e32 v[46:47], v[42:43], v[44:45]
	v_mov_b64_e32 v[44:45], v[18:19]
	v_fmac_f64_e32 v[44:45], v[42:43], v[46:47]
	v_mov_b64_e32 v[46:47], v[20:21]
	v_fmac_f64_e32 v[46:47], v[42:43], v[44:45]
	v_mov_b64_e32 v[44:45], v[22:23]
	v_fmac_f64_e32 v[44:45], v[42:43], v[46:47]
	v_mov_b64_e32 v[46:47], v[24:25]
	v_fmac_f64_e32 v[46:47], v[42:43], v[44:45]
	v_ldexp_f64 v[44:45], v[30:31], 1
	v_mul_f64 v[30:31], v[30:31], v[42:43]
	v_mul_f64 v[30:31], v[30:31], v[46:47]
	v_add_f64 v[42:43], v[44:45], v[30:31]
	v_add_f64 v[44:45], v[42:43], -v[44:45]
	v_ldexp_f64 v[12:13], v[12:13], 1
	v_add_f64 v[30:31], v[30:31], -v[44:45]
	v_add_f64 v[12:13], v[12:13], v[30:31]
	v_add_f64 v[30:31], v[42:43], v[12:13]
	v_add_f64 v[42:43], v[30:31], -v[42:43]
	v_add_f64 v[12:13], v[12:13], -v[42:43]
	v_cvt_f64_i32_e32 v[42:43], v41
	v_mul_f64 v[44:45], v[42:43], s[44:45]
	v_fma_f64 v[46:47], v[42:43], s[44:45], -v[44:45]
	v_fmac_f64_e32 v[46:47], s[46:47], v[42:43]
	v_add_f64 v[42:43], v[44:45], v[46:47]
	v_add_f64 v[44:45], v[42:43], -v[44:45]
	v_add_f64 v[44:45], v[46:47], -v[44:45]
	v_add_f64 v[46:47], v[42:43], v[30:31]
	v_add_f64 v[48:49], v[46:47], -v[42:43]
	v_add_f64 v[50:51], v[46:47], -v[48:49]
	;; [unrolled: 1-line block ×4, first 2 shown]
	v_add_f64 v[30:31], v[30:31], v[42:43]
	v_add_f64 v[42:43], v[44:45], v[12:13]
	v_add_f64 v[48:49], v[42:43], -v[44:45]
	v_add_f64 v[50:51], v[42:43], -v[48:49]
	v_add_f64 v[30:31], v[42:43], v[30:31]
	v_add_f64 v[44:45], v[44:45], -v[50:51]
	v_add_f64 v[12:13], v[12:13], -v[48:49]
	v_add_f64 v[42:43], v[46:47], v[30:31]
	v_add_f64 v[12:13], v[12:13], v[44:45]
	v_add_f64 v[44:45], v[42:43], -v[46:47]
	v_add_f64 v[30:31], v[30:31], -v[44:45]
	v_add_f64 v[12:13], v[12:13], v[30:31]
	v_add_f64 v[12:13], v[42:43], v[12:13]
	v_cmp_class_f64_e64 vcc, v[4:5], s28
	s_nop 1
	v_cndmask_b32_e32 v12, v12, v4, vcc
	v_cndmask_b32_e32 v13, v13, v5, vcc
	v_cmp_ngt_f64_e32 vcc, 0, v[4:5]
	s_nop 1
	v_cndmask_b32_e32 v13, v1, v13, vcc
	v_cmp_nge_f64_e32 vcc, 0, v[4:5]
	s_nop 1
	v_cndmask_b32_e32 v12, 0, v12, vcc
	v_cmp_neq_f64_e32 vcc, 0, v[4:5]
	s_nop 1
	v_cndmask_b32_e32 v13, v32, v13, vcc
	v_add_f64 v[4:5], v[12:13], -v[26:27]
	v_div_scale_f64 v[12:13], s[12:13], s[44:45], s[44:45], v[4:5]
	v_rcp_f64_e32 v[30:31], v[12:13]
	s_nop 0
	v_fma_f64 v[42:43], -v[12:13], v[30:31], 1.0
	v_fmac_f64_e32 v[30:31], v[30:31], v[42:43]
	v_fma_f64 v[42:43], -v[12:13], v[30:31], 1.0
	v_fmac_f64_e32 v[30:31], v[30:31], v[42:43]
	v_div_scale_f64 v[42:43], vcc, v[4:5], s[44:45], v[4:5]
	v_mul_f64 v[44:45], v[42:43], v[30:31]
	v_fma_f64 v[12:13], -v[12:13], v[44:45], v[42:43]
	s_nop 1
	v_div_fmas_f64 v[12:13], v[12:13], v[30:31], v[44:45]
	v_div_fixup_f64 v[4:5], v[12:13], s[44:45], v[4:5]
	v_cvt_i32_f64_e32 v4, v[4:5]
	v_mov_b32_e32 v5, v40
	v_readfirstlane_b32 s3, v4
	s_and_saveexec_b64 s[14:15], s[4:5]
	s_cbranch_execz .LBB7_28
; %bb.18:                               ;   in Loop: Header=BB7_4 Depth=1
	s_add_u32 s54, s72, s52
	s_addc_u32 s55, s73, s53
	v_add_f64 v[12:13], v[10:11], -v[6:7]
	s_cmp_gt_i32 s50, 1
	v_cmp_ge_f64_e32 vcc, s[24:25], v[12:13]
	s_cselect_b64 s[56:57], -1, 0
	s_cmp_lt_i32 s50, 2
	v_cndmask_b32_e64 v4, 0, 1, vcc
	ds_write_b8 v38, v38 offset:6661
	s_cbranch_scc1 .LBB7_21
; %bb.19:                               ;   in Loop: Header=BB7_4 Depth=1
	v_cmp_gt_f64_e64 s[12:13], v[12:13], -s[24:25]
	s_xor_b32 s23, s25, 0x80000000
	s_and_b64 vcc, vcc, s[12:13]
	s_not_b32 s12, s22
	v_mov_b32_e32 v5, s23
	s_add_i32 s51, s12, s85
	v_cndmask_b32_e32 v13, v13, v5, vcc
	v_mov_b32_e32 v5, s24
	s_add_u32 s58, s76, s52
	v_cndmask_b32_e32 v12, v12, v5, vcc
	s_addc_u32 s59, s77, s53
	s_mov_b64 s[60:61], s[54:55]
.LBB7_20:                               ;   Parent Loop BB7_4 Depth=1
                                        ; =>  This Inner Loop Header: Depth=2
	global_load_dwordx2 v[30:31], v38, s[58:59]
	global_load_dwordx2 v[42:43], v38, s[60:61]
	s_add_i32 s51, s51, -1
	v_mov_b32_e32 v5, s23
	v_mov_b32_e32 v41, s24
	s_waitcnt vmcnt(1)
	v_add_f64 v[30:31], v[30:31], -v[6:7]
	s_waitcnt vmcnt(0)
	v_div_scale_f64 v[44:45], s[12:13], v[12:13], v[12:13], v[42:43]
	v_rcp_f64_e32 v[48:49], v[44:45]
	v_div_scale_f64 v[46:47], vcc, v[42:43], v[12:13], v[42:43]
	v_fma_f64 v[50:51], -v[44:45], v[48:49], 1.0
	v_fmac_f64_e32 v[48:49], v[48:49], v[50:51]
	v_fma_f64 v[50:51], -v[44:45], v[48:49], 1.0
	v_fmac_f64_e32 v[48:49], v[48:49], v[50:51]
	v_mul_f64 v[50:51], v[46:47], v[48:49]
	v_fma_f64 v[44:45], -v[44:45], v[50:51], v[46:47]
	v_div_fmas_f64 v[44:45], v[44:45], v[48:49], v[50:51]
	v_div_fixup_f64 v[12:13], v[44:45], v[12:13], v[42:43]
	v_add_f64 v[12:13], v[30:31], -v[12:13]
	v_cmp_gt_f64_e64 s[86:87], v[12:13], -s[24:25]
	v_cmp_ge_f64_e32 vcc, s[24:25], v[12:13]
	s_nop 1
	v_addc_co_u32_e64 v4, s[12:13], 0, v4, vcc
	s_and_b64 vcc, vcc, s[86:87]
	s_add_u32 s58, s58, 8
	s_addc_u32 s59, s59, 0
	s_add_u32 s60, s60, 8
	s_addc_u32 s61, s61, 0
	v_cndmask_b32_e32 v13, v13, v5, vcc
	s_cmp_lg_u32 s51, 0
	v_cndmask_b32_e32 v12, v12, v41, vcc
	s_cbranch_scc1 .LBB7_20
.LBB7_21:                               ;   in Loop: Header=BB7_4 Depth=1
	v_add_f64 v[10:11], v[10:11], -v[8:9]
	v_cmp_ge_f64_e64 s[12:13], s[24:25], v[10:11]
	s_andn2_b64 vcc, exec, s[56:57]
	s_nop 0
	v_cndmask_b32_e64 v5, 0, 1, s[12:13]
	s_cbranch_vccnz .LBB7_24
; %bb.22:                               ;   in Loop: Header=BB7_4 Depth=1
	v_cmp_gt_f64_e64 s[56:57], v[10:11], -s[24:25]
	s_xor_b32 s23, s25, 0x80000000
	s_and_b64 vcc, s[12:13], s[56:57]
	s_not_b32 s12, s22
	v_mov_b32_e32 v12, s23
	s_add_i32 s51, s12, s85
	v_cndmask_b32_e32 v11, v11, v12, vcc
	v_mov_b32_e32 v12, s24
	s_add_u32 s56, s76, s52
	v_cndmask_b32_e32 v10, v10, v12, vcc
	s_addc_u32 s57, s77, s53
.LBB7_23:                               ;   Parent Loop BB7_4 Depth=1
                                        ; =>  This Inner Loop Header: Depth=2
	global_load_dwordx2 v[12:13], v38, s[56:57]
	global_load_dwordx2 v[30:31], v38, s[54:55]
	s_add_i32 s51, s51, -1
	v_mov_b32_e32 v41, s23
	v_mov_b32_e32 v50, s24
	s_waitcnt vmcnt(1)
	v_add_f64 v[12:13], v[12:13], -v[8:9]
	s_waitcnt vmcnt(0)
	v_div_scale_f64 v[42:43], s[12:13], v[10:11], v[10:11], v[30:31]
	v_rcp_f64_e32 v[46:47], v[42:43]
	v_div_scale_f64 v[44:45], vcc, v[30:31], v[10:11], v[30:31]
	v_fma_f64 v[48:49], -v[42:43], v[46:47], 1.0
	v_fmac_f64_e32 v[46:47], v[46:47], v[48:49]
	v_fma_f64 v[48:49], -v[42:43], v[46:47], 1.0
	v_fmac_f64_e32 v[46:47], v[46:47], v[48:49]
	v_mul_f64 v[48:49], v[44:45], v[46:47]
	v_fma_f64 v[42:43], -v[42:43], v[48:49], v[44:45]
	v_div_fmas_f64 v[42:43], v[42:43], v[46:47], v[48:49]
	v_div_fixup_f64 v[10:11], v[42:43], v[10:11], v[30:31]
	v_add_f64 v[10:11], v[12:13], -v[10:11]
	v_cmp_gt_f64_e64 s[58:59], v[10:11], -s[24:25]
	v_cmp_ge_f64_e32 vcc, s[24:25], v[10:11]
	s_nop 1
	v_addc_co_u32_e64 v5, s[12:13], 0, v5, vcc
	s_and_b64 vcc, vcc, s[58:59]
	s_add_u32 s56, s56, 8
	s_addc_u32 s57, s57, 0
	s_add_u32 s54, s54, 8
	s_addc_u32 s55, s55, 0
	v_cndmask_b32_e32 v11, v11, v41, vcc
	s_cmp_lg_u32 s51, 0
	v_cndmask_b32_e32 v10, v10, v50, vcc
	s_cbranch_scc1 .LBB7_23
.LBB7_24:                               ;   in Loop: Header=BB7_4 Depth=1
	v_sub_u32_e32 v10, v5, v4
	v_cmp_gt_i32_e32 vcc, 1, v10
	s_mov_b64 s[12:13], -1
	s_cbranch_vccz .LBB7_26
; %bb.25:                               ;   in Loop: Header=BB7_4 Depth=1
	s_add_u32 s12, s74, s26
	s_addc_u32 s13, s75, s27
	ds_write_b8 v38, v38 offset:6660
	global_store_dword v38, v38, s[12:13]
	s_mov_b64 s[12:13], 0
.LBB7_26:                               ;   in Loop: Header=BB7_4 Depth=1
	s_andn2_b64 vcc, exec, s[12:13]
	s_cbranch_vccnz .LBB7_28
; %bb.27:                               ;   in Loop: Header=BB7_4 Depth=1
	s_add_i32 s12, s22, s29
	s_lshl_b32 s12, s12, 1
	s_ashr_i32 s13, s12, 31
	s_lshl_b64 s[54:55], s[12:13], 3
	s_add_u32 s54, s30, s54
	s_addc_u32 s55, s31, s55
	global_store_dwordx4 v38, v[6:9], s[54:55]
	s_add_u32 s54, s74, s26
	s_addc_u32 s55, s75, s27
	s_lshl_b64 s[12:13], s[12:13], 2
	s_add_u32 s12, s34, s12
	s_addc_u32 s13, s35, s13
	ds_write_b8 v38, v39 offset:6660
	global_store_dword v38, v10, s[54:55]
	global_store_dwordx2 v38, v[4:5], s[12:13]
.LBB7_28:                               ;   in Loop: Header=BB7_4 Depth=1
	s_or_b64 exec, exec, s[14:15]
	s_add_i32 s3, s3, 2
	s_mov_b32 s23, 0
	s_mov_b32 s84, 1
.LBB7_29:                               ;   in Loop: Header=BB7_4 Depth=1
	s_waitcnt lgkmcnt(0)
	s_barrier
	ds_read_u16 v4, v38 offset:6660
	s_waitcnt lgkmcnt(0)
	v_readfirstlane_b32 s12, v4
	s_bitcmp1_b32 s12, 0
	s_cselect_b64 s[14:15], -1, 0
	s_bitcmp1_b32 s12, 8
	s_cselect_b64 s[12:13], -1, 0
	s_xor_b64 s[54:55], s[12:13], -1
	s_and_b64 s[54:55], s[14:15], s[54:55]
	s_cmp_lt_i32 s23, s3
	s_cselect_b64 s[56:57], -1, 0
	s_and_b64 s[54:55], s[54:55], s[56:57]
	s_andn2_b64 vcc, exec, s[54:55]
	s_cbranch_vccnz .LBB7_70
; %bb.30:                               ;   in Loop: Header=BB7_4 Depth=1
	s_add_i32 s12, s22, s29
	s_lshl_b32 s86, s22, 1
	s_lshl_b32 s87, s12, 1
	s_add_u32 s54, s72, s52
	v_mov_b32_e32 v4, s21
	s_addc_u32 s55, s73, s53
	v_cndmask_b32_e64 v3, v4, v3, s[0:1]
	v_mov_b32_e32 v4, s20
	s_cmp_gt_i32 s50, 1
	v_cndmask_b32_e64 v2, v4, v2, s[0:1]
	s_cselect_b64 s[50:51], -1, 0
	s_not_b32 s88, s22
	v_mov_b32_e32 v4, s25
	v_cmp_gt_f64_e32 vcc, s[24:25], v[2:3]
	s_add_i32 s88, s88, s85
	s_add_u32 s52, s76, s52
	v_cndmask_b32_e32 v31, v3, v4, vcc
	v_mov_b32_e32 v3, s24
	v_cndmask_b32_e32 v30, v2, v3, vcc
	s_addc_u32 s53, s77, s53
	s_branch .LBB7_32
.LBB7_31:                               ;   in Loop: Header=BB7_32 Depth=2
	s_or_b64 exec, exec, s[12:13]
	s_waitcnt lgkmcnt(0)
	s_barrier
	ds_read_u16 v2, v38 offset:6660
	s_add_i32 s23, s23, 1
	s_waitcnt lgkmcnt(0)
	v_readfirstlane_b32 s12, v2
	s_bitcmp1_b32 s12, 0
	s_cselect_b64 s[14:15], -1, 0
	s_bitcmp1_b32 s12, 8
	s_cselect_b64 s[12:13], -1, 0
	s_xor_b64 s[56:57], s[12:13], -1
	s_and_b64 s[56:57], s[14:15], s[56:57]
	s_cmp_lt_i32 s23, s3
	s_cselect_b64 s[58:59], -1, 0
	s_and_b64 s[56:57], s[56:57], s[58:59]
	s_and_b64 vcc, exec, s[56:57]
	s_cbranch_vccz .LBB7_71
.LBB7_32:                               ;   Parent Loop BB7_4 Depth=1
                                        ; =>  This Loop Header: Depth=2
                                        ;       Child Loop BB7_37 Depth 3
                                        ;         Child Loop BB7_40 Depth 4
                                        ;         Child Loop BB7_54 Depth 4
	;; [unrolled: 1-line block ×3, first 2 shown]
	s_and_saveexec_b64 s[12:13], s[4:5]
; %bb.33:                               ;   in Loop: Header=BB7_32 Depth=2
	ds_write_b32 v38, v38 offset:6656
; %bb.34:                               ;   in Loop: Header=BB7_32 Depth=2
	s_or_b64 exec, exec, s[12:13]
	s_bitcmp0_b32 s23, 0
	s_cselect_b64 s[12:13], -1, 0
	s_and_b64 s[14:15], s[12:13], exec
	s_cselect_b32 s85, s86, s87
	s_cmp_lt_i32 s84, 1
	s_cbranch_scc1 .LBB7_66
; %bb.35:                               ;   in Loop: Header=BB7_32 Depth=2
	s_and_b64 s[12:13], s[12:13], exec
	s_cselect_b32 s89, s87, s86
	s_mov_b32 s90, 0
	s_branch .LBB7_37
.LBB7_36:                               ;   in Loop: Header=BB7_37 Depth=3
	s_or_b64 exec, exec, s[12:13]
	s_addk_i32 s90, 0x80
	s_cmp_ge_i32 s90, s84
	s_waitcnt lgkmcnt(0)
	s_barrier
	s_cbranch_scc1 .LBB7_66
.LBB7_37:                               ;   Parent Loop BB7_4 Depth=1
                                        ;     Parent Loop BB7_32 Depth=2
                                        ; =>    This Loop Header: Depth=3
                                        ;         Child Loop BB7_40 Depth 4
                                        ;         Child Loop BB7_54 Depth 4
	;; [unrolled: 1-line block ×3, first 2 shown]
	v_add_u32_e32 v2, s90, v0
	v_cmp_gt_i32_e64 s[12:13], s84, v2
	s_and_saveexec_b64 s[56:57], s[12:13]
	s_cbranch_execz .LBB7_50
; %bb.38:                               ;   in Loop: Header=BB7_37 Depth=3
	v_lshl_add_u32 v4, v2, 1, s89
	v_ashrrev_i32_e32 v5, 31, v4
	v_lshl_add_u64 v[2:3], v[4:5], 3, s[30:31]
	global_load_dwordx4 v[6:9], v[2:3], off
	s_nop 0
	global_load_dwordx2 v[2:3], v38, s[48:49]
	v_lshl_add_u64 v[4:5], v[4:5], 2, s[34:35]
	global_load_dwordx2 v[4:5], v[4:5], off
	s_andn2_b64 vcc, exec, s[50:51]
	s_waitcnt vmcnt(2)
	v_add_f64 v[12:13], v[6:7], v[8:9]
	s_waitcnt vmcnt(1)
	v_fmac_f64_e32 v[2:3], -0.5, v[12:13]
	v_cmp_ge_f64_e64 s[14:15], s[24:25], v[2:3]
	v_mul_f64 v[10:11], v[12:13], 0.5
	s_nop 0
	v_cndmask_b32_e64 v12, 0, 1, s[14:15]
	s_cbranch_vccnz .LBB7_41
; %bb.39:                               ;   in Loop: Header=BB7_37 Depth=3
	s_xor_b32 s91, s25, 0x80000000
	v_cmp_gt_f64_e64 s[58:59], v[2:3], -s[24:25]
	v_mov_b32_e32 v13, s91
	s_and_b64 vcc, s[14:15], s[58:59]
	v_cndmask_b32_e32 v3, v3, v13, vcc
	v_mov_b32_e32 v13, s24
	v_cndmask_b32_e32 v2, v2, v13, vcc
	s_mov_b64 s[58:59], s[54:55]
	s_mov_b64 s[60:61], s[52:53]
	s_mov_b32 s92, s88
.LBB7_40:                               ;   Parent Loop BB7_4 Depth=1
                                        ;     Parent Loop BB7_32 Depth=2
                                        ;       Parent Loop BB7_37 Depth=3
                                        ; =>      This Inner Loop Header: Depth=4
	global_load_dwordx2 v[42:43], v38, s[60:61]
	global_load_dwordx2 v[44:45], v38, s[58:59]
	s_add_i32 s92, s92, -1
	v_mov_b32_e32 v13, s91
	v_mov_b32_e32 v41, s24
	s_waitcnt vmcnt(1)
	v_add_f64 v[42:43], v[42:43], -v[10:11]
	s_waitcnt vmcnt(0)
	v_div_scale_f64 v[46:47], s[14:15], v[2:3], v[2:3], v[44:45]
	v_rcp_f64_e32 v[50:51], v[46:47]
	v_div_scale_f64 v[48:49], vcc, v[44:45], v[2:3], v[44:45]
	v_fma_f64 v[52:53], -v[46:47], v[50:51], 1.0
	v_fmac_f64_e32 v[50:51], v[50:51], v[52:53]
	v_fma_f64 v[52:53], -v[46:47], v[50:51], 1.0
	v_fmac_f64_e32 v[50:51], v[50:51], v[52:53]
	v_mul_f64 v[52:53], v[48:49], v[50:51]
	v_fma_f64 v[46:47], -v[46:47], v[52:53], v[48:49]
	v_div_fmas_f64 v[46:47], v[46:47], v[50:51], v[52:53]
	v_div_fixup_f64 v[2:3], v[46:47], v[2:3], v[44:45]
	v_add_f64 v[2:3], v[42:43], -v[2:3]
	v_cmp_gt_f64_e64 s[94:95], v[2:3], -s[24:25]
	v_cmp_ge_f64_e32 vcc, s[24:25], v[2:3]
	s_nop 1
	v_addc_co_u32_e64 v12, s[14:15], 0, v12, vcc
	s_and_b64 vcc, vcc, s[94:95]
	s_add_u32 s60, s60, 8
	s_addc_u32 s61, s61, 0
	s_add_u32 s58, s58, 8
	s_addc_u32 s59, s59, 0
	v_cndmask_b32_e32 v3, v3, v13, vcc
	s_cmp_lg_u32 s92, 0
	v_cndmask_b32_e32 v2, v2, v41, vcc
	s_cbranch_scc1 .LBB7_40
.LBB7_41:                               ;   in Loop: Header=BB7_37 Depth=3
	s_waitcnt vmcnt(0)
	v_max_i32_e32 v2, v12, v4
	v_min_i32_e32 v3, v2, v5
	v_cmp_ne_u32_e32 vcc, v3, v4
	s_and_saveexec_b64 s[14:15], vcc
	s_xor_b64 s[14:15], exec, s[14:15]
	s_cbranch_execz .LBB7_47
; %bb.42:                               ;   in Loop: Header=BB7_37 Depth=3
	v_cmp_le_i32_e32 vcc, v5, v2
	s_and_saveexec_b64 s[58:59], vcc
	s_xor_b64 s[58:59], exec, s[58:59]
	s_cbranch_execz .LBB7_44
; %bb.43:                               ;   in Loop: Header=BB7_37 Depth=3
	v_mov_b32_e32 v8, v10
	v_mov_b32_e32 v9, v11
	;; [unrolled: 1-line block ×3, first 2 shown]
	ds_write_b32 v34, v38
	ds_write_b128 v35, v[6:9]
	ds_write_b64 v36, v[2:3]
                                        ; implicit-def: $vgpr6_vgpr7
                                        ; implicit-def: $vgpr10_vgpr11
.LBB7_44:                               ;   in Loop: Header=BB7_37 Depth=3
	s_andn2_saveexec_b64 s[58:59], s[58:59]
	s_cbranch_execz .LBB7_46
; %bb.45:                               ;   in Loop: Header=BB7_37 Depth=3
	v_mov_b32_e32 v42, v6
	v_mov_b32_e32 v43, v7
	v_mov_b32_e32 v44, v10
	v_mov_b32_e32 v45, v11
	v_mov_b32_e32 v12, v8
	v_mov_b32_e32 v13, v9
	v_mov_b32_e32 v2, v4
	v_mov_b32_e32 v4, v3
	ds_write_b32 v34, v39
	ds_write_b128 v35, v[42:45]
	ds_write_b128 v35, v[10:13] offset:16
	ds_write_b128 v36, v[2:5]
.LBB7_46:                               ;   in Loop: Header=BB7_37 Depth=3
	s_or_b64 exec, exec, s[58:59]
                                        ; implicit-def: $vgpr10_vgpr11
                                        ; implicit-def: $vgpr8_vgpr9
.LBB7_47:                               ;   in Loop: Header=BB7_37 Depth=3
	s_andn2_saveexec_b64 s[14:15], s[14:15]
	s_cbranch_execz .LBB7_49
; %bb.48:                               ;   in Loop: Header=BB7_37 Depth=3
	v_mov_b32_e32 v12, v8
	v_mov_b32_e32 v13, v9
	ds_write_b32 v34, v38
	ds_write_b128 v35, v[10:13]
	ds_write_b64 v36, v[4:5]
.LBB7_49:                               ;   in Loop: Header=BB7_37 Depth=3
	s_or_b64 exec, exec, s[14:15]
.LBB7_50:                               ;   in Loop: Header=BB7_37 Depth=3
	s_or_b64 exec, exec, s[56:57]
	s_waitcnt lgkmcnt(0)
	s_barrier
	s_and_saveexec_b64 s[14:15], s[12:13]
	s_cbranch_execz .LBB7_64
; %bb.51:                               ;   in Loop: Header=BB7_37 Depth=3
	v_mov_b32_e32 v5, 0
	s_and_saveexec_b64 s[12:13], s[6:7]
	s_cbranch_execz .LBB7_61
; %bb.52:                               ;   in Loop: Header=BB7_37 Depth=3
	s_mov_b64 s[58:59], -1
	v_mov_b32_e32 v5, 0
	v_mov_b32_e32 v3, 0
	s_and_saveexec_b64 s[56:57], s[8:9]
	s_cbranch_execz .LBB7_56
; %bb.53:                               ;   in Loop: Header=BB7_37 Depth=3
	s_movk_i32 s60, 0x1800
	s_mov_b64 s[58:59], 0
	v_mov_b32_e32 v3, 0
	v_mov_b32_e32 v2, 0
	;; [unrolled: 1-line block ×5, first 2 shown]
.LBB7_54:                               ;   Parent Loop BB7_4 Depth=1
                                        ;     Parent Loop BB7_32 Depth=2
                                        ;       Parent Loop BB7_37 Depth=3
                                        ; =>      This Inner Loop Header: Depth=4
	v_mov_b32_e32 v7, s60
	ds_read_b128 v[8:11], v7
	v_add_u32_e32 v6, -4, v6
	s_add_i32 s60, s60, 16
	v_cmp_eq_u32_e32 vcc, 0, v6
	s_or_b64 s[58:59], vcc, s[58:59]
	s_waitcnt lgkmcnt(0)
	v_add_u32_e32 v3, v9, v3
	v_add_u32_e32 v2, v8, v2
	;; [unrolled: 1-line block ×4, first 2 shown]
	s_andn2_b64 exec, exec, s[58:59]
	s_cbranch_execnz .LBB7_54
; %bb.55:                               ;   in Loop: Header=BB7_37 Depth=3
	s_or_b64 exec, exec, s[58:59]
	v_add_u32_e32 v3, v5, v3
	v_add3_u32 v5, v4, v2, v3
	s_orn2_b64 s[58:59], s[10:11], exec
	v_mov_b32_e32 v3, v37
.LBB7_56:                               ;   in Loop: Header=BB7_37 Depth=3
	s_or_b64 exec, exec, s[56:57]
	s_and_saveexec_b64 s[56:57], s[58:59]
	s_cbranch_execz .LBB7_60
; %bb.57:                               ;   in Loop: Header=BB7_37 Depth=3
	v_sub_u32_e32 v2, v0, v3
	v_lshl_or_b32 v3, v3, 2, v33
	s_mov_b64 s[58:59], 0
.LBB7_58:                               ;   Parent Loop BB7_4 Depth=1
                                        ;     Parent Loop BB7_32 Depth=2
                                        ;       Parent Loop BB7_37 Depth=3
                                        ; =>      This Inner Loop Header: Depth=4
	ds_read_b32 v4, v3
	v_add_u32_e32 v2, -1, v2
	v_cmp_eq_u32_e32 vcc, 0, v2
	v_add_u32_e32 v3, 4, v3
	s_or_b64 s[58:59], vcc, s[58:59]
	s_waitcnt lgkmcnt(0)
	v_add_u32_e32 v5, v4, v5
	s_andn2_b64 exec, exec, s[58:59]
	s_cbranch_execnz .LBB7_58
; %bb.59:                               ;   in Loop: Header=BB7_37 Depth=3
	s_or_b64 exec, exec, s[58:59]
.LBB7_60:                               ;   in Loop: Header=BB7_37 Depth=3
	s_or_b64 exec, exec, s[56:57]
.LBB7_61:                               ;   in Loop: Header=BB7_37 Depth=3
	s_or_b64 exec, exec, s[12:13]
	ds_read_b32 v2, v38 offset:6656
	ds_read_b64 v[12:13], v36
	ds_read_b128 v[8:11], v35
	ds_read_b32 v4, v34
	s_waitcnt lgkmcnt(3)
	v_add3_u32 v2, v5, v0, v2
	v_lshl_add_u32 v6, v2, 1, s85
	v_ashrrev_i32_e32 v7, 31, v6
	v_lshl_add_u64 v[2:3], v[6:7], 3, s[30:31]
	v_lshl_add_u64 v[6:7], v[6:7], 2, s[34:35]
	s_waitcnt lgkmcnt(0)
	v_cmp_ne_u32_e32 vcc, 0, v4
	global_store_dwordx4 v[2:3], v[8:11], off
	global_store_dwordx2 v[6:7], v[12:13], off
	s_and_saveexec_b64 s[12:13], vcc
	s_cbranch_execz .LBB7_63
; %bb.62:                               ;   in Loop: Header=BB7_37 Depth=3
	ds_read_b128 v[8:11], v35 offset:16
	ds_read_b64 v[12:13], v36 offset:8
	s_waitcnt lgkmcnt(1)
	global_store_dwordx4 v[2:3], v[8:11], off offset:16
	s_waitcnt lgkmcnt(0)
	global_store_dwordx2 v[6:7], v[12:13], off offset:8
.LBB7_63:                               ;   in Loop: Header=BB7_37 Depth=3
	s_or_b64 exec, exec, s[12:13]
.LBB7_64:                               ;   in Loop: Header=BB7_37 Depth=3
	s_or_b64 exec, exec, s[14:15]
	s_sub_i32 s12, s84, s90
	s_min_i32 s14, s12, 0x80
	s_add_i32 s12, s14, -1
	v_cmp_eq_u32_e32 vcc, s12, v0
	s_barrier
	s_and_saveexec_b64 s[12:13], vcc
	s_cbranch_execz .LBB7_36
; %bb.65:                               ;   in Loop: Header=BB7_37 Depth=3
	ds_read_b32 v2, v34
	ds_read_b32 v3, v38 offset:6656
	v_add_u32_e32 v4, s14, v5
	s_waitcnt lgkmcnt(0)
	v_add3_u32 v2, v4, v2, v3
	ds_write_b32 v38, v2 offset:6656
	s_branch .LBB7_36
.LBB7_66:                               ;   in Loop: Header=BB7_32 Depth=2
	ds_read_b32 v2, v38 offset:6656
	s_waitcnt lgkmcnt(0)
	v_readfirstlane_b32 s84, v2
	s_and_saveexec_b64 s[12:13], s[4:5]
	s_cbranch_execz .LBB7_31
; %bb.67:                               ;   in Loop: Header=BB7_32 Depth=2
	ds_read_b128 v[6:9], v38
	s_waitcnt lgkmcnt(0)
	v_cmp_lt_f64_e64 vcc, |v[6:7]|, |v[8:9]|
	v_add_f64 v[2:3], v[8:9], -v[6:7]
	s_nop 0
	v_cndmask_b32_e32 v7, v7, v9, vcc
	v_cndmask_b32_e32 v6, v6, v8, vcc
	v_mul_f64 v[6:7], v[28:29], |v[6:7]|
	v_cmp_lt_f64_e32 vcc, v[30:31], v[6:7]
	s_nop 1
	v_cndmask_b32_e32 v7, v31, v7, vcc
	v_cndmask_b32_e32 v6, v30, v6, vcc
	v_cmp_nlt_f64_e32 vcc, v[2:3], v[6:7]
	s_cbranch_vccnz .LBB7_31
; %bb.68:                               ;   in Loop: Header=BB7_32 Depth=2
	ds_write_b8 v38, v39 offset:6661
	s_branch .LBB7_31
.LBB7_69:                               ;   in Loop: Header=BB7_4 Depth=1
                                        ; implicit-def: $sgpr23
                                        ; implicit-def: $sgpr85
                                        ; implicit-def: $sgpr3
                                        ; implicit-def: $sgpr84
                                        ; implicit-def: $vgpr5
	s_cbranch_execz .LBB7_3
	s_branch .LBB7_83
.LBB7_70:                               ;   in Loop: Header=BB7_4 Depth=1
	s_mov_b32 s85, s81
.LBB7_71:                               ;   in Loop: Header=BB7_4 Depth=1
	s_and_b64 s[48:49], s[4:5], s[14:15]
	s_and_saveexec_b64 s[14:15], s[48:49]
	s_cbranch_execz .LBB7_82
; %bb.72:                               ;   in Loop: Header=BB7_4 Depth=1
	s_cmp_lt_i32 s84, 1
	s_cbranch_scc1 .LBB7_80
; %bb.73:                               ;   in Loop: Header=BB7_4 Depth=1
	s_add_i32 s50, s2, 1
	s_not_b32 s51, s2
	s_and_b64 s[48:49], s[12:13], exec
	s_cselect_b32 s48, s50, s51
	s_mov_b32 s52, 0
	v_mov_b32_e32 v4, s48
	s_mov_b32 s53, 0
	s_branch .LBB7_75
.LBB7_74:                               ;   in Loop: Header=BB7_75 Depth=2
	s_add_i32 s52, s52, 1
	s_cmp_eq_u32 s52, s84
	s_cbranch_scc1 .LBB7_79
.LBB7_75:                               ;   Parent Loop BB7_4 Depth=1
                                        ; =>  This Loop Header: Depth=2
                                        ;       Child Loop BB7_77 Depth 3
	s_lshl_b32 s48, s52, 1
	s_add_i32 s48, s48, s85
	s_ashr_i32 s49, s48, 31
	s_lshl_b64 s[50:51], s[48:49], 2
	s_add_u32 s50, s34, s50
	s_addc_u32 s51, s35, s51
	global_load_dwordx2 v[2:3], v38, s[50:51]
	s_waitcnt vmcnt(0)
	v_readfirstlane_b32 s50, v2
	v_readfirstlane_b32 s54, v3
	s_sub_i32 s55, s54, s50
	s_cmp_lt_i32 s55, 1
	s_cbranch_scc1 .LBB7_74
; %bb.76:                               ;   in Loop: Header=BB7_75 Depth=2
	s_lshl_b64 s[48:49], s[48:49], 3
	s_add_u32 s48, s30, s48
	s_addc_u32 s49, s31, s49
	global_load_dwordx4 v[6:9], v38, s[48:49]
	s_add_i32 s50, s22, s53
	s_ashr_i32 s51, s50, 31
	s_lshl_b64 s[48:49], s[50:51], 3
	s_add_u32 s48, s66, s48
	s_addc_u32 s49, s67, s49
	s_lshl_b64 s[50:51], s[50:51], 2
	s_add_u32 s50, s68, s50
	s_addc_u32 s51, s69, s51
	s_mov_b32 s56, 0
	s_waitcnt vmcnt(0)
	v_add_f64 v[2:3], v[6:7], v[8:9]
	v_mul_f64 v[2:3], v[2:3], 0.5
.LBB7_77:                               ;   Parent Loop BB7_4 Depth=1
                                        ;     Parent Loop BB7_75 Depth=2
                                        ; =>    This Inner Loop Header: Depth=3
	s_add_i32 s56, s56, 1
	global_store_dwordx2 v38, v[2:3], s[48:49]
	global_store_dword v38, v4, s[50:51]
	s_add_u32 s48, s48, 8
	s_addc_u32 s49, s49, 0
	s_add_u32 s50, s50, 4
	s_addc_u32 s51, s51, 0
	s_cmp_ge_i32 s56, s55
	s_cbranch_scc0 .LBB7_77
; %bb.78:                               ;   in Loop: Header=BB7_75 Depth=2
	s_add_i32 s53, s53, s56
	s_branch .LBB7_74
.LBB7_79:                               ;   in Loop: Header=BB7_4 Depth=1
	v_mov_b32_e32 v5, s54
.LBB7_80:                               ;   in Loop: Header=BB7_4 Depth=1
	s_xor_b64 s[12:13], s[12:13], -1
	s_and_b64 vcc, exec, s[12:13]
	s_cbranch_vccz .LBB7_82
; %bb.81:                               ;   in Loop: Header=BB7_4 Depth=1
	global_store_dword v38, v39, s[18:19]
.LBB7_82:                               ;   in Loop: Header=BB7_4 Depth=1
	s_or_b64 exec, exec, s[14:15]
	s_branch .LBB7_3
.LBB7_83:                               ;   in Loop: Header=BB7_4 Depth=1
	s_and_saveexec_b64 s[12:13], s[4:5]
	s_cbranch_execz .LBB7_2
; %bb.84:                               ;   in Loop: Header=BB7_4 Depth=1
	s_ashr_i32 s23, s22, 31
	s_lshl_b64 s[14:15], s[22:23], 3
	s_add_u32 s48, s62, s14
	s_addc_u32 s49, s63, s15
	global_load_dwordx2 v[2:3], v38, s[48:49]
	s_andn2_b64 vcc, exec, s[36:37]
	s_mov_b64 s[48:49], -1
	s_cbranch_vccnz .LBB7_89
; %bb.85:                               ;   in Loop: Header=BB7_4 Depth=1
	global_load_dwordx2 v[6:7], v38, s[16:17]
	s_waitcnt vmcnt(1)
	v_add_f64 v[4:5], v[2:3], -s[24:25]
	s_mov_b64 s[48:49], 0
	s_waitcnt vmcnt(0)
	v_cmp_lt_f64_e32 vcc, v[6:7], v[4:5]
	v_cmp_nlt_f64_e64 s[50:51], v[6:7], v[4:5]
	s_cbranch_vccz .LBB7_87
; %bb.86:                               ;   in Loop: Header=BB7_4 Depth=1
	global_load_dwordx2 v[6:7], v38, s[16:17] offset:8
	s_mov_b64 s[48:49], -1
	s_waitcnt vmcnt(0)
	v_cmp_nge_f64_e64 s[50:51], v[6:7], v[4:5]
.LBB7_87:                               ;   in Loop: Header=BB7_4 Depth=1
	s_andn2_b64 vcc, exec, s[50:51]
	s_cbranch_vccnz .LBB7_89
; %bb.88:                               ;   in Loop: Header=BB7_4 Depth=1
	s_add_u32 s48, s74, s26
	s_addc_u32 s49, s75, s27
	global_store_dword v38, v38, s[48:49]
	s_mov_b64 s[48:49], 0
.LBB7_89:                               ;   in Loop: Header=BB7_4 Depth=1
	s_and_b64 vcc, exec, s[48:49]
	s_cbranch_vccz .LBB7_2
; %bb.90:                               ;   in Loop: Header=BB7_4 Depth=1
	s_add_u32 s14, s66, s14
	s_addc_u32 s15, s67, s15
	s_waitcnt vmcnt(0)
	global_store_dwordx2 v38, v[2:3], s[14:15]
	s_add_u32 s14, s74, s26
	s_addc_u32 s15, s75, s27
	global_store_dword v38, v39, s[14:15]
	s_add_i32 s3, s2, 1
	s_lshl_b64 s[14:15], s[22:23], 2
	s_add_u32 s14, s68, s14
	s_addc_u32 s15, s69, s15
	v_mov_b32_e32 v2, s3
	global_store_dword v38, v2, s[14:15]
	s_branch .LBB7_2
.LBB7_91:
	s_endpgm
	.section	.rodata,"a",@progbits
	.p2align	6, 0x0
	.amdhsa_kernel _ZN9rocsolver6v33100L22stebz_bisection_kernelIdPdEEv15rocblas_erange_iT_T0_iiS5_iiPiPS4_lS6_lS6_lS6_S6_S7_S7_S7_S7_S6_S4_S4_
		.amdhsa_group_segment_fixed_size 6664
		.amdhsa_private_segment_fixed_size 0
		.amdhsa_kernarg_size 176
		.amdhsa_user_sgpr_count 2
		.amdhsa_user_sgpr_dispatch_ptr 0
		.amdhsa_user_sgpr_queue_ptr 0
		.amdhsa_user_sgpr_kernarg_segment_ptr 1
		.amdhsa_user_sgpr_dispatch_id 0
		.amdhsa_user_sgpr_kernarg_preload_length 0
		.amdhsa_user_sgpr_kernarg_preload_offset 0
		.amdhsa_user_sgpr_private_segment_size 0
		.amdhsa_uses_dynamic_stack 0
		.amdhsa_enable_private_segment 0
		.amdhsa_system_sgpr_workgroup_id_x 1
		.amdhsa_system_sgpr_workgroup_id_y 1
		.amdhsa_system_sgpr_workgroup_id_z 0
		.amdhsa_system_sgpr_workgroup_info 0
		.amdhsa_system_vgpr_workitem_id 0
		.amdhsa_next_free_vgpr 54
		.amdhsa_next_free_sgpr 96
		.amdhsa_accum_offset 56
		.amdhsa_reserve_vcc 1
		.amdhsa_float_round_mode_32 0
		.amdhsa_float_round_mode_16_64 0
		.amdhsa_float_denorm_mode_32 3
		.amdhsa_float_denorm_mode_16_64 3
		.amdhsa_dx10_clamp 1
		.amdhsa_ieee_mode 1
		.amdhsa_fp16_overflow 0
		.amdhsa_tg_split 0
		.amdhsa_exception_fp_ieee_invalid_op 0
		.amdhsa_exception_fp_denorm_src 0
		.amdhsa_exception_fp_ieee_div_zero 0
		.amdhsa_exception_fp_ieee_overflow 0
		.amdhsa_exception_fp_ieee_underflow 0
		.amdhsa_exception_fp_ieee_inexact 0
		.amdhsa_exception_int_div_zero 0
	.end_amdhsa_kernel
	.section	.text._ZN9rocsolver6v33100L22stebz_bisection_kernelIdPdEEv15rocblas_erange_iT_T0_iiS5_iiPiPS4_lS6_lS6_lS6_S6_S7_S7_S7_S7_S6_S4_S4_,"axG",@progbits,_ZN9rocsolver6v33100L22stebz_bisection_kernelIdPdEEv15rocblas_erange_iT_T0_iiS5_iiPiPS4_lS6_lS6_lS6_S6_S7_S7_S7_S7_S6_S4_S4_,comdat
.Lfunc_end7:
	.size	_ZN9rocsolver6v33100L22stebz_bisection_kernelIdPdEEv15rocblas_erange_iT_T0_iiS5_iiPiPS4_lS6_lS6_lS6_S6_S7_S7_S7_S7_S6_S4_S4_, .Lfunc_end7-_ZN9rocsolver6v33100L22stebz_bisection_kernelIdPdEEv15rocblas_erange_iT_T0_iiS5_iiPiPS4_lS6_lS6_lS6_S6_S7_S7_S7_S7_S6_S4_S4_
                                        ; -- End function
	.set _ZN9rocsolver6v33100L22stebz_bisection_kernelIdPdEEv15rocblas_erange_iT_T0_iiS5_iiPiPS4_lS6_lS6_lS6_S6_S7_S7_S7_S7_S6_S4_S4_.num_vgpr, 54
	.set _ZN9rocsolver6v33100L22stebz_bisection_kernelIdPdEEv15rocblas_erange_iT_T0_iiS5_iiPiPS4_lS6_lS6_lS6_S6_S7_S7_S7_S7_S6_S4_S4_.num_agpr, 0
	.set _ZN9rocsolver6v33100L22stebz_bisection_kernelIdPdEEv15rocblas_erange_iT_T0_iiS5_iiPiPS4_lS6_lS6_lS6_S6_S7_S7_S7_S7_S6_S4_S4_.numbered_sgpr, 96
	.set _ZN9rocsolver6v33100L22stebz_bisection_kernelIdPdEEv15rocblas_erange_iT_T0_iiS5_iiPiPS4_lS6_lS6_lS6_S6_S7_S7_S7_S7_S6_S4_S4_.num_named_barrier, 0
	.set _ZN9rocsolver6v33100L22stebz_bisection_kernelIdPdEEv15rocblas_erange_iT_T0_iiS5_iiPiPS4_lS6_lS6_lS6_S6_S7_S7_S7_S7_S6_S4_S4_.private_seg_size, 0
	.set _ZN9rocsolver6v33100L22stebz_bisection_kernelIdPdEEv15rocblas_erange_iT_T0_iiS5_iiPiPS4_lS6_lS6_lS6_S6_S7_S7_S7_S7_S6_S4_S4_.uses_vcc, 1
	.set _ZN9rocsolver6v33100L22stebz_bisection_kernelIdPdEEv15rocblas_erange_iT_T0_iiS5_iiPiPS4_lS6_lS6_lS6_S6_S7_S7_S7_S7_S6_S4_S4_.uses_flat_scratch, 0
	.set _ZN9rocsolver6v33100L22stebz_bisection_kernelIdPdEEv15rocblas_erange_iT_T0_iiS5_iiPiPS4_lS6_lS6_lS6_S6_S7_S7_S7_S7_S6_S4_S4_.has_dyn_sized_stack, 0
	.set _ZN9rocsolver6v33100L22stebz_bisection_kernelIdPdEEv15rocblas_erange_iT_T0_iiS5_iiPiPS4_lS6_lS6_lS6_S6_S7_S7_S7_S7_S6_S4_S4_.has_recursion, 0
	.set _ZN9rocsolver6v33100L22stebz_bisection_kernelIdPdEEv15rocblas_erange_iT_T0_iiS5_iiPiPS4_lS6_lS6_lS6_S6_S7_S7_S7_S7_S6_S4_S4_.has_indirect_call, 0
	.section	.AMDGPU.csdata,"",@progbits
; Kernel info:
; codeLenInByte = 5480
; TotalNumSgprs: 102
; NumVgprs: 54
; NumAgprs: 0
; TotalNumVgprs: 54
; ScratchSize: 0
; MemoryBound: 0
; FloatMode: 240
; IeeeMode: 1
; LDSByteSize: 6664 bytes/workgroup (compile time only)
; SGPRBlocks: 12
; VGPRBlocks: 6
; NumSGPRsForWavesPerEU: 102
; NumVGPRsForWavesPerEU: 54
; AccumOffset: 56
; Occupancy: 7
; WaveLimiterHint : 1
; COMPUTE_PGM_RSRC2:SCRATCH_EN: 0
; COMPUTE_PGM_RSRC2:USER_SGPR: 2
; COMPUTE_PGM_RSRC2:TRAP_HANDLER: 0
; COMPUTE_PGM_RSRC2:TGID_X_EN: 1
; COMPUTE_PGM_RSRC2:TGID_Y_EN: 1
; COMPUTE_PGM_RSRC2:TGID_Z_EN: 0
; COMPUTE_PGM_RSRC2:TIDIG_COMP_CNT: 0
; COMPUTE_PGM_RSRC3_GFX90A:ACCUM_OFFSET: 13
; COMPUTE_PGM_RSRC3_GFX90A:TG_SPLIT: 0
	.section	.text._ZN9rocsolver6v33100L22stebz_synthesis_kernelIdPdEEv15rocblas_erange_15rocblas_eorder_iiiT0_iiPiS6_PT_lS6_lS6_liS6_S8_S8_S8_S8_S6_S7_,"axG",@progbits,_ZN9rocsolver6v33100L22stebz_synthesis_kernelIdPdEEv15rocblas_erange_15rocblas_eorder_iiiT0_iiPiS6_PT_lS6_lS6_liS6_S8_S8_S8_S8_S6_S7_,comdat
	.globl	_ZN9rocsolver6v33100L22stebz_synthesis_kernelIdPdEEv15rocblas_erange_15rocblas_eorder_iiiT0_iiPiS6_PT_lS6_lS6_liS6_S8_S8_S8_S8_S6_S7_ ; -- Begin function _ZN9rocsolver6v33100L22stebz_synthesis_kernelIdPdEEv15rocblas_erange_15rocblas_eorder_iiiT0_iiPiS6_PT_lS6_lS6_liS6_S8_S8_S8_S8_S6_S7_
	.p2align	8
	.type	_ZN9rocsolver6v33100L22stebz_synthesis_kernelIdPdEEv15rocblas_erange_15rocblas_eorder_iiiT0_iiPiS6_PT_lS6_lS6_liS6_S8_S8_S8_S8_S6_S7_,@function
_ZN9rocsolver6v33100L22stebz_synthesis_kernelIdPdEEv15rocblas_erange_15rocblas_eorder_iiiT0_iiPiS6_PT_lS6_lS6_liS6_S8_S8_S8_S8_S6_S7_: ; @_ZN9rocsolver6v33100L22stebz_synthesis_kernelIdPdEEv15rocblas_erange_15rocblas_eorder_iiiT0_iiPiS6_PT_lS6_lS6_liS6_S8_S8_S8_S8_S6_S7_
; %bb.0:
	s_load_dword s3, s[0:1], 0xb4
	s_load_dword s4, s[0:1], 0x68
	s_waitcnt lgkmcnt(0)
	s_and_b32 s3, s3, 0xffff
	s_mul_i32 s2, s2, s3
	v_add_u32_e32 v0, s2, v0
	v_cmp_gt_i32_e32 vcc, s4, v0
	s_and_saveexec_b64 s[2:3], vcc
	s_cbranch_execz .LBB8_61
; %bb.1:
	s_load_dwordx16 s[4:19], s[0:1], 0x28
	v_ashrrev_i32_e32 v1, 31, v0
	s_waitcnt lgkmcnt(0)
	v_mov_b32_e32 v2, s6
	v_mov_b32_e32 v3, s7
	v_lshl_add_u64 v[2:3], v[0:1], 2, v[2:3]
	global_load_dword v32, v[2:3], off
	s_load_dwordx8 s[20:27], s[0:1], 0x70
	s_load_dwordx4 s[28:31], s[0:1], 0x0
	s_load_dword s33, s[0:1], 0x10
	v_mul_lo_u32 v13, s11, v0
	v_mul_lo_u32 v14, s10, v1
	v_mad_u64_u32 v[2:3], s[2:3], s10, v0, 0
	v_mul_lo_u32 v17, s19, v0
	v_mul_lo_u32 v18, s18, v1
	v_mad_u64_u32 v[10:11], s[2:3], s18, v0, 0
	s_waitcnt lgkmcnt(0)
	v_mul_lo_u32 v12, v0, s30
	v_mov_b32_e32 v6, s16
	v_mov_b32_e32 v7, s17
	;; [unrolled: 1-line block ×4, first 2 shown]
	v_mul_lo_u32 v15, s15, v0
	v_mul_lo_u32 v16, s14, v1
	v_mad_u64_u32 v[4:5], s[2:3], s14, v0, 0
	v_add3_u32 v3, v3, v14, v13
	v_add3_u32 v11, v11, v18, v17
	v_ashrrev_i32_e32 v13, 31, v12
	s_cmpk_eq_i32 s28, 0xe9
	v_add3_u32 v5, v5, v16, v15
	v_lshl_add_u64 v[20:21], v[10:11], 2, v[6:7]
	v_lshl_add_u64 v[16:17], v[12:13], 2, v[8:9]
	s_waitcnt vmcnt(0)
	v_cmp_lt_i32_e32 vcc, 0, v32
	v_cmp_gt_i32_e64 s[2:3], 1, v32
	s_cbranch_scc1 .LBB8_12
; %bb.2:
	v_mov_b32_e32 v14, 0
	s_and_saveexec_b64 s[6:7], vcc
	s_cbranch_execz .LBB8_14
; %bb.3:
	s_mov_b32 s15, 0
	v_lshl_add_u64 v[6:7], v[2:3], 3, s[8:9]
	v_lshl_add_u64 v[8:9], v[4:5], 2, s[12:13]
	s_mov_b64 s[10:11], 0
	v_mov_b32_e32 v14, 0
	s_mov_b32 s14, s15
	s_branch .LBB8_5
.LBB8_4:                                ;   in Loop: Header=BB8_5 Depth=1
	s_or_b64 exec, exec, s[16:17]
	s_add_i32 s14, s14, 1
	v_cmp_eq_u32_e32 vcc, s14, v32
	s_or_b64 s[10:11], vcc, s[10:11]
	s_andn2_b64 exec, exec, s[10:11]
	s_cbranch_execz .LBB8_13
.LBB8_5:                                ; =>This Loop Header: Depth=1
                                        ;     Child Loop BB8_10 Depth 2
	s_cmp_eq_u32 s14, 0
	s_cbranch_scc1 .LBB8_7
; %bb.6:                                ;   in Loop: Header=BB8_5 Depth=1
	v_lshl_add_u64 v[10:11], s[14:15], 2, v[20:21]
	global_load_dword v18, v[10:11], off offset:-4
	s_mov_b64 s[16:17], s[14:15]
	s_branch .LBB8_8
.LBB8_7:                                ;   in Loop: Header=BB8_5 Depth=1
	v_mov_b32_e32 v18, 0
	s_mov_b64 s[16:17], 0
.LBB8_8:                                ;   in Loop: Header=BB8_5 Depth=1
	v_lshl_add_u64 v[10:11], s[16:17], 2, v[16:17]
	global_load_dword v12, v[10:11], off
	s_waitcnt vmcnt(0)
	v_cmp_lt_i32_e32 vcc, 0, v12
	s_and_saveexec_b64 s[16:17], vcc
	s_cbranch_execz .LBB8_4
; %bb.9:                                ;   in Loop: Header=BB8_5 Depth=1
	v_ashrrev_i32_e32 v19, 31, v18
	v_ashrrev_i32_e32 v15, 31, v14
	v_lshl_add_u64 v[12:13], v[18:19], 3, v[6:7]
	v_lshl_add_u64 v[18:19], v[18:19], 2, v[8:9]
	;; [unrolled: 1-line block ×4, first 2 shown]
	s_mov_b32 s20, 0
	s_mov_b64 s[18:19], 0
.LBB8_10:                               ;   Parent Loop BB8_5 Depth=1
                                        ; =>  This Inner Loop Header: Depth=2
	global_load_dword v15, v[18:19], off
	s_add_i32 s20, s20, 1
	v_lshl_add_u64 v[18:19], v[18:19], 0, 4
	s_waitcnt vmcnt(0)
	global_store_dword v[24:25], v15, off
	global_load_dword v28, v[10:11], off
	global_load_dwordx2 v[26:27], v[12:13], off
	v_lshl_add_u64 v[12:13], v[12:13], 0, 8
	v_add_u32_e32 v15, s20, v14
	v_lshl_add_u64 v[24:25], v[24:25], 0, 4
	s_waitcnt vmcnt(1)
	v_cmp_ge_i32_e32 vcc, s20, v28
	s_waitcnt vmcnt(0)
	global_store_dwordx2 v[22:23], v[26:27], off
	v_lshl_add_u64 v[22:23], v[22:23], 0, 8
	s_or_b64 s[18:19], vcc, s[18:19]
	s_andn2_b64 exec, exec, s[18:19]
	s_cbranch_execnz .LBB8_10
; %bb.11:                               ;   in Loop: Header=BB8_5 Depth=1
	s_or_b64 exec, exec, s[18:19]
	v_mov_b32_e32 v14, v15
	s_branch .LBB8_4
.LBB8_12:
                                        ; implicit-def: $vgpr14
	v_lshl_add_u64 v[2:3], v[2:3], 3, s[8:9]
	v_lshl_add_u64 v[4:5], v[4:5], 2, s[12:13]
	s_branch .LBB8_15
.LBB8_13:
	s_or_b64 exec, exec, s[10:11]
.LBB8_14:
	s_or_b64 exec, exec, s[6:7]
	v_lshl_add_u64 v[2:3], v[2:3], 3, s[8:9]
	v_lshl_add_u64 v[4:5], v[4:5], 2, s[12:13]
	s_cbranch_execnz .LBB8_53
.LBB8_15:
	v_mov_b32_e32 v6, s22
	v_mov_b32_e32 v7, s23
	v_lshl_add_u64 v[6:7], v[0:1], 3, v[6:7]
	global_load_dwordx2 v[6:7], v[6:7], off
	s_load_dwordx4 s[8:11], s[0:1], 0x90
	v_lshlrev_b32_e32 v18, 1, v0
	v_mul_lo_u32 v14, v18, s30
	v_ashrrev_i32_e32 v15, 31, v14
                                        ; implicit-def: $sgpr6_sgpr7
	s_and_saveexec_b64 s[14:15], s[2:3]
	s_xor_b64 s[2:3], exec, s[14:15]
; %bb.16:
	s_ashr_i32 s7, s30, 31
	s_mov_b32 s6, s30
                                        ; implicit-def: $vgpr32
                                        ; implicit-def: $vgpr16_vgpr17
                                        ; implicit-def: $vgpr20_vgpr21
; %bb.17:
	s_or_saveexec_b64 s[2:3], s[2:3]
	v_mov_b32_e32 v12, 0
	v_mov_b64_e32 v[22:23], s[6:7]
	s_waitcnt lgkmcnt(0)
	v_lshl_add_u64 v[8:9], v[14:15], 3, s[8:9]
	v_lshl_add_u64 v[10:11], v[14:15], 2, s[10:11]
	s_xor_b64 exec, exec, s[2:3]
	s_cbranch_execz .LBB8_28
; %bb.18:
	s_ashr_i32 s7, s30, 31
	s_mov_b32 s6, s30
	s_mov_b32 s19, 0
	s_lshl_b64 s[14:15], s[6:7], 3
	s_mov_b64 s[16:17], 0
	v_mov_b32_e32 v12, 0
	s_mov_b32 s18, s19
	s_branch .LBB8_20
.LBB8_19:                               ;   in Loop: Header=BB8_20 Depth=1
	s_or_b64 exec, exec, s[20:21]
	s_add_i32 s18, s18, 1
	v_cmp_eq_u32_e32 vcc, s18, v32
	s_or_b64 s[16:17], vcc, s[16:17]
	s_andn2_b64 exec, exec, s[16:17]
	s_cbranch_execz .LBB8_27
.LBB8_20:                               ; =>This Loop Header: Depth=1
                                        ;     Child Loop BB8_25 Depth 2
	s_cmp_eq_u32 s18, 0
	s_cbranch_scc1 .LBB8_22
; %bb.21:                               ;   in Loop: Header=BB8_20 Depth=1
	v_lshl_add_u64 v[22:23], s[18:19], 2, v[20:21]
	global_load_dword v26, v[22:23], off offset:-4
	s_mov_b64 s[20:21], s[18:19]
	s_branch .LBB8_23
.LBB8_22:                               ;   in Loop: Header=BB8_20 Depth=1
	v_mov_b32_e32 v26, 0
	s_mov_b64 s[20:21], 0
.LBB8_23:                               ;   in Loop: Header=BB8_20 Depth=1
	v_lshl_add_u64 v[22:23], s[20:21], 2, v[16:17]
	global_load_dword v13, v[22:23], off
	s_waitcnt vmcnt(0)
	v_cmp_lt_i32_e32 vcc, 0, v13
	s_and_saveexec_b64 s[20:21], vcc
	s_cbranch_execz .LBB8_19
; %bb.24:                               ;   in Loop: Header=BB8_20 Depth=1
	v_ashrrev_i32_e32 v27, 31, v26
	v_ashrrev_i32_e32 v13, 31, v12
	v_lshl_add_u64 v[24:25], v[26:27], 3, v[2:3]
	v_lshl_add_u64 v[26:27], v[26:27], 2, v[4:5]
	v_lshl_add_u64 v[28:29], v[12:13], 3, v[8:9]
	v_lshl_add_u64 v[30:31], v[12:13], 2, v[10:11]
	s_mov_b32 s28, 0
	s_mov_b64 s[22:23], 0
.LBB8_25:                               ;   Parent Loop BB8_20 Depth=1
                                        ; =>  This Inner Loop Header: Depth=2
	global_load_dword v13, v[26:27], off
	s_add_i32 s28, s28, 1
	v_lshl_add_u64 v[36:37], v[28:29], 0, s[14:15]
	v_lshl_add_u64 v[26:27], v[26:27], 0, 4
	s_waitcnt vmcnt(0)
	global_store_dword v[30:31], v13, off
	global_load_dword v19, v[22:23], off
	global_load_dwordx2 v[34:35], v[24:25], off
	v_lshl_add_u64 v[24:25], v[24:25], 0, 8
	v_add_u32_e32 v13, s28, v12
	v_lshl_add_u64 v[30:31], v[30:31], 0, 4
	s_waitcnt vmcnt(0)
	global_store_dwordx2 v[28:29], v[34:35], off
	global_store_dwordx2 v[36:37], v[34:35], off
	v_cmp_ge_i32_e32 vcc, s28, v19
	v_lshl_add_u64 v[28:29], v[28:29], 0, 8
	s_or_b64 s[22:23], vcc, s[22:23]
	s_andn2_b64 exec, exec, s[22:23]
	s_cbranch_execnz .LBB8_25
; %bb.26:                               ;   in Loop: Header=BB8_20 Depth=1
	s_or_b64 exec, exec, s[22:23]
	v_mov_b32_e32 v12, v13
	s_branch .LBB8_19
.LBB8_27:
	s_or_b64 exec, exec, s[16:17]
	v_mov_b64_e32 v[22:23], s[6:7]
.LBB8_28:
	s_or_b64 exec, exec, s[2:3]
; %bb.29:
	v_lshl_add_u64 v[16:17], v[22:23], 3, v[8:9]
	s_mov_b32 s6, 1
	v_cmp_lt_i32_e32 vcc, 1, v12
	s_and_saveexec_b64 s[14:15], vcc
	s_cbranch_execz .LBB8_37
; %bb.30:
	s_cmp_lg_u64 s[10:11], 0
	v_lshlrev_b64 v[14:15], 3, v[14:15]
	v_lshl_add_u64 v[14:15], v[22:23], 3, v[14:15]
	s_cselect_b64 s[2:3], -1, 0
	v_lshl_add_u64 v[14:15], s[8:9], 0, v[14:15]
	v_cndmask_b32_e64 v13, 0, 1, s[2:3]
	v_lshl_add_u64 v[20:21], v[22:23], 2, v[10:11]
	s_mov_b64 s[16:17], 0
	v_lshl_add_u64 v[14:15], v[14:15], 0, 8
	v_cmp_ne_u32_e64 s[2:3], 1, v13
	s_branch .LBB8_32
.LBB8_31:                               ;   in Loop: Header=BB8_32 Depth=1
	s_or_b64 exec, exec, s[8:9]
	s_add_i32 s6, s6, 1
	v_cmp_eq_u32_e32 vcc, s6, v12
	s_or_b64 s[16:17], vcc, s[16:17]
	v_lshl_add_u64 v[14:15], v[14:15], 0, 8
	s_andn2_b64 exec, exec, s[16:17]
	s_cbranch_execz .LBB8_37
.LBB8_32:                               ; =>This Loop Header: Depth=1
                                        ;     Child Loop BB8_33 Depth 2
	s_ashr_i32 s7, s6, 31
	v_lshl_add_u64 v[24:25], s[6:7], 3, v[16:17]
	global_load_dwordx2 v[26:27], v[24:25], off offset:-8
	s_add_i32 s10, s6, -1
	v_mov_b32_e32 v22, s10
	s_mov_b64 s[8:9], 0
	v_mov_b64_e32 v[30:31], v[14:15]
	s_mov_b32 s11, s6
	s_waitcnt vmcnt(0)
	v_mov_b64_e32 v[28:29], v[26:27]
.LBB8_33:                               ;   Parent Loop BB8_32 Depth=1
                                        ; =>  This Inner Loop Header: Depth=2
	global_load_dwordx2 v[32:33], v[30:31], off
	v_mov_b32_e32 v13, s11
	s_add_i32 s11, s11, 1
	v_cmp_eq_u32_e32 vcc, s11, v12
	s_or_b64 s[8:9], vcc, s[8:9]
	v_lshl_add_u64 v[30:31], v[30:31], 0, 8
	s_waitcnt vmcnt(0)
	v_cmp_lt_f64_e32 vcc, v[32:33], v[28:29]
	s_nop 1
	v_cndmask_b32_e32 v29, v29, v33, vcc
	v_cndmask_b32_e32 v28, v28, v32, vcc
	v_cndmask_b32_e32 v22, v22, v13, vcc
	s_andn2_b64 exec, exec, s[8:9]
	s_cbranch_execnz .LBB8_33
; %bb.34:                               ;   in Loop: Header=BB8_32 Depth=1
	s_or_b64 exec, exec, s[8:9]
	v_cmp_ne_u32_e32 vcc, s10, v22
	s_and_saveexec_b64 s[8:9], vcc
	s_cbranch_execz .LBB8_31
; %bb.35:                               ;   in Loop: Header=BB8_32 Depth=1
	v_ashrrev_i32_e32 v23, 31, v22
	v_lshl_add_u64 v[30:31], v[22:23], 3, v[16:17]
	s_and_b64 vcc, exec, s[2:3]
	global_store_dwordx2 v[30:31], v[26:27], off
	global_store_dwordx2 v[24:25], v[28:29], off offset:-8
	s_cbranch_vccnz .LBB8_31
; %bb.36:                               ;   in Loop: Header=BB8_32 Depth=1
	v_lshl_add_u64 v[24:25], s[6:7], 2, v[20:21]
	v_lshl_add_u64 v[22:23], v[22:23], 2, v[20:21]
	global_load_dword v13, v[24:25], off offset:-4
	global_load_dword v19, v[22:23], off
	s_waitcnt vmcnt(1)
	global_store_dword v[22:23], v13, off
	s_waitcnt vmcnt(1)
	global_store_dword v[24:25], v19, off offset:-4
	s_branch .LBB8_31
.LBB8_37:
	s_or_b64 exec, exec, s[14:15]
	v_mov_b32_e32 v14, 0
	v_cmp_lt_i32_e32 vcc, 0, v12
	s_and_saveexec_b64 s[6:7], vcc
	s_cbranch_execz .LBB8_52
; %bb.38:
	s_load_dwordx4 s[8:11], s[0:1], 0x18
	s_add_i32 s22, s30, -1
	v_mul_lo_u32 v22, v0, s22
	v_mov_b32_e32 v14, s24
	v_mov_b32_e32 v15, s25
	s_waitcnt lgkmcnt(0)
	s_ashr_i32 s1, s10, 31
	s_mov_b32 s0, s10
	v_mad_i64_i32 v[20:21], s[2:3], v0, s11, 0
	v_lshlrev_b64 v[26:27], 3, v[20:21]
	s_lshl_b64 s[0:1], s[0:1], 3
	v_lshl_add_u64 v[20:21], s[8:9], 0, v[26:27]
	s_cmp_gt_i32 s30, 1
	v_lshl_add_u64 v[20:21], v[20:21], 0, s[0:1]
	s_cselect_b64 s[2:3], -1, 0
	s_add_u32 s0, s8, s0
	v_ashrrev_i32_e32 v23, 31, v22
	s_addc_u32 s1, s9, s1
	v_mov_b32_e32 v24, s26
	v_mov_b32_e32 v25, s27
	v_lshl_add_u64 v[22:23], v[22:23], 3, v[14:15]
	v_ashrrev_i32_e32 v19, 31, v18
	v_lshl_add_u64 v[14:15], s[0:1], 0, v[26:27]
	v_lshl_add_u64 v[18:19], v[18:19], 3, v[24:25]
	;; [unrolled: 1-line block ×3, first 2 shown]
	s_mov_b32 s11, 0
	v_cndmask_b32_e64 v15, 0, 1, s[2:3]
	v_add_u32_e32 v13, -1, v12
	s_mov_b64 s[8:9], 0
	v_mov_b32_e32 v14, 0
	v_cmp_ne_u32_e64 s[0:1], 1, v15
	s_waitcnt vmcnt(0)
	v_xor_b32_e32 v36, 0x80000000, v7
	s_mov_b32 s10, s11
	s_branch .LBB8_41
.LBB8_39:                               ;   in Loop: Header=BB8_41 Depth=1
	s_or_b64 exec, exec, s[2:3]
.LBB8_40:                               ;   in Loop: Header=BB8_41 Depth=1
	s_or_b64 exec, exec, s[14:15]
	s_add_i32 s10, s10, 1
	v_cmp_eq_u32_e32 vcc, s10, v12
	s_or_b64 s[8:9], vcc, s[8:9]
	s_andn2_b64 exec, exec, s[8:9]
	s_cbranch_execz .LBB8_51
.LBB8_41:                               ; =>This Loop Header: Depth=1
                                        ;     Child Loop BB8_43 Depth 2
                                        ;     Child Loop BB8_48 Depth 2
	v_lshl_add_u64 v[26:27], s[10:11], 3, v[8:9]
	global_load_dwordx2 v[26:27], v[26:27], off
	s_mov_b64 s[14:15], 0
	v_mov_b64_e32 v[32:33], v[16:17]
	s_mov_b32 s23, s11
                                        ; implicit-def: $sgpr2_sgpr3
                                        ; implicit-def: $sgpr18_sgpr19
                                        ; implicit-def: $sgpr16_sgpr17
	s_branch .LBB8_43
.LBB8_42:                               ;   in Loop: Header=BB8_43 Depth=2
	s_or_b64 exec, exec, s[20:21]
	s_and_b64 s[20:21], exec, s[18:19]
	s_or_b64 s[14:15], s[20:21], s[14:15]
	s_andn2_b64 s[2:3], s[2:3], exec
	s_and_b64 s[20:21], s[16:17], exec
	v_mov_b32_e32 v15, s23
	s_or_b64 s[2:3], s[2:3], s[20:21]
	s_mov_b32 s23, s24
	s_andn2_b64 exec, exec, s[14:15]
	s_cbranch_execz .LBB8_45
.LBB8_43:                               ;   Parent Loop BB8_41 Depth=1
                                        ; =>  This Inner Loop Header: Depth=2
	global_load_dwordx2 v[28:29], v[32:33], off
	v_mov_b64_e32 v[30:31], v[32:33]
	s_or_b64 s[16:17], s[16:17], exec
	s_or_b64 s[18:19], s[18:19], exec
                                        ; implicit-def: $sgpr24
                                        ; implicit-def: $vgpr32_vgpr33
	s_waitcnt vmcnt(0)
	v_cmp_neq_f64_e32 vcc, v[26:27], v[28:29]
	s_and_saveexec_b64 s[20:21], vcc
	s_cbranch_execz .LBB8_42
; %bb.44:                               ;   in Loop: Header=BB8_43 Depth=2
	s_add_i32 s24, s23, 1
	v_cmp_eq_u32_e32 vcc, s24, v12
	s_andn2_b64 s[18:19], s[18:19], exec
	s_and_b64 s[26:27], vcc, exec
	v_lshl_add_u64 v[32:33], v[30:31], 0, 8
	s_andn2_b64 s[16:17], s[16:17], exec
	s_or_b64 s[18:19], s[18:19], s[26:27]
	s_branch .LBB8_42
.LBB8_45:                               ;   in Loop: Header=BB8_41 Depth=1
	s_or_b64 exec, exec, s[14:15]
	s_and_saveexec_b64 s[14:15], s[2:3]
	s_xor_b64 s[14:15], exec, s[14:15]
	s_cbranch_execz .LBB8_40
; %bb.46:                               ;   in Loop: Header=BB8_41 Depth=1
	v_cmp_eq_u32_e32 vcc, v15, v13
	s_nop 1
	v_cndmask_b32_e32 v31, v31, v19, vcc
	v_cndmask_b32_e32 v30, v30, v18, vcc
	global_load_dwordx2 v[32:33], v[30:31], off offset:8
	global_load_dwordx2 v[34:35], v[20:21], off
	s_and_b64 vcc, exec, s[0:1]
	s_waitcnt vmcnt(1)
	v_add_f64 v[28:29], v[32:33], -v[28:29]
	v_fma_f64 v[28:29], 0.5, v[28:29], v[26:27]
	s_waitcnt vmcnt(0)
	v_add_f64 v[30:31], v[34:35], -v[28:29]
	v_cmp_le_f64_e64 s[2:3], v[30:31], v[6:7]
	s_nop 1
	v_cndmask_b32_e64 v15, 0, 1, s[2:3]
	s_cbranch_vccnz .LBB8_49
; %bb.47:                               ;   in Loop: Header=BB8_41 Depth=1
	v_cmp_gt_f64_e64 s[16:17], v[30:31], -v[6:7]
	s_and_b64 vcc, s[2:3], s[16:17]
	v_cndmask_b32_e32 v35, v31, v36, vcc
	v_cndmask_b32_e32 v34, v30, v6, vcc
	v_mov_b64_e32 v[30:31], v[22:23]
	v_mov_b64_e32 v[32:33], v[24:25]
	s_mov_b32 s16, s22
.LBB8_48:                               ;   Parent Loop BB8_41 Depth=1
                                        ; =>  This Inner Loop Header: Depth=2
	global_load_dwordx2 v[38:39], v[30:31], off
	global_load_dwordx2 v[40:41], v[32:33], off
	s_add_i32 s16, s16, -1
	v_lshl_add_u64 v[32:33], v[32:33], 0, 8
	v_lshl_add_u64 v[30:31], v[30:31], 0, 8
	s_waitcnt vmcnt(1)
	v_div_scale_f64 v[42:43], s[2:3], v[34:35], v[34:35], v[38:39]
	v_rcp_f64_e32 v[46:47], v[42:43]
	v_div_scale_f64 v[44:45], vcc, v[38:39], v[34:35], v[38:39]
	s_waitcnt vmcnt(0)
	v_add_f64 v[40:41], v[40:41], -v[28:29]
	v_fma_f64 v[48:49], -v[42:43], v[46:47], 1.0
	v_fmac_f64_e32 v[46:47], v[46:47], v[48:49]
	v_fma_f64 v[48:49], -v[42:43], v[46:47], 1.0
	v_fmac_f64_e32 v[46:47], v[46:47], v[48:49]
	v_mul_f64 v[48:49], v[44:45], v[46:47]
	v_fma_f64 v[42:43], -v[42:43], v[48:49], v[44:45]
	v_div_fmas_f64 v[42:43], v[42:43], v[46:47], v[48:49]
	v_div_fixup_f64 v[34:35], v[42:43], v[34:35], v[38:39]
	v_add_f64 v[34:35], v[40:41], -v[34:35]
	v_cmp_gt_f64_e64 s[18:19], v[34:35], -v[6:7]
	v_cmp_le_f64_e32 vcc, v[34:35], v[6:7]
	s_nop 1
	v_addc_co_u32_e64 v15, s[2:3], 0, v15, vcc
	s_and_b64 vcc, vcc, s[18:19]
	v_cndmask_b32_e32 v35, v35, v36, vcc
	s_cmp_lg_u32 s16, 0
	v_cndmask_b32_e32 v34, v34, v6, vcc
	s_cbranch_scc1 .LBB8_48
.LBB8_49:                               ;   in Loop: Header=BB8_41 Depth=1
	v_cmp_le_i32_e32 vcc, s31, v15
	v_cmp_ge_i32_e64 s[2:3], s33, v15
	s_and_b64 s[16:17], vcc, s[2:3]
	s_and_saveexec_b64 s[2:3], s[16:17]
	s_cbranch_execz .LBB8_39
; %bb.50:                               ;   in Loop: Header=BB8_41 Depth=1
	v_lshl_add_u64 v[28:29], s[10:11], 2, v[10:11]
	global_load_dword v32, v[28:29], off
	v_ashrrev_i32_e32 v15, 31, v14
	v_lshl_add_u64 v[28:29], v[14:15], 3, v[2:3]
	v_lshl_add_u64 v[30:31], v[14:15], 2, v[4:5]
	v_add_u32_e32 v14, 1, v14
	global_store_dwordx2 v[28:29], v[26:27], off
	s_waitcnt vmcnt(1)
	global_store_dword v[30:31], v32, off
	s_branch .LBB8_39
.LBB8_51:
	s_or_b64 exec, exec, s[8:9]
.LBB8_52:
	s_or_b64 exec, exec, s[6:7]
.LBB8_53:
	s_cmpk_eq_i32 s29, 0xf2
	s_waitcnt vmcnt(0)
	v_mov_b32_e32 v6, s4
	v_mov_b32_e32 v7, s5
	s_cselect_b64 s[0:1], -1, 0
	v_cmp_lt_i32_e32 vcc, 1, v14
	v_lshl_add_u64 v[0:1], v[0:1], 2, v[6:7]
	s_mov_b32 s2, 1
	s_and_b64 s[0:1], s[0:1], vcc
	global_store_dword v[0:1], v14, off
	s_and_b64 exec, exec, s[0:1]
	s_cbranch_execz .LBB8_61
; %bb.54:
	s_cmp_lg_u64 s[12:13], 0
	s_cselect_b64 s[0:1], -1, 0
	v_cndmask_b32_e64 v6, 0, 1, s[0:1]
	s_mov_b64 s[4:5], 0
	v_lshl_add_u64 v[0:1], v[2:3], 0, 8
	v_cmp_ne_u32_e64 s[0:1], 1, v6
	s_branch .LBB8_56
.LBB8_55:                               ;   in Loop: Header=BB8_56 Depth=1
	s_or_b64 exec, exec, s[6:7]
	s_add_i32 s2, s2, 1
	v_cmp_eq_u32_e32 vcc, s2, v14
	s_or_b64 s[4:5], vcc, s[4:5]
	v_lshl_add_u64 v[0:1], v[0:1], 0, 8
	s_andn2_b64 exec, exec, s[4:5]
	s_cbranch_execz .LBB8_61
.LBB8_56:                               ; =>This Loop Header: Depth=1
                                        ;     Child Loop BB8_57 Depth 2
	s_ashr_i32 s3, s2, 31
	v_lshl_add_u64 v[8:9], s[2:3], 3, v[2:3]
	global_load_dwordx2 v[10:11], v[8:9], off offset:-8
	s_add_i32 s8, s2, -1
	v_mov_b32_e32 v6, s8
	s_mov_b64 s[6:7], 0
	v_mov_b64_e32 v[16:17], v[0:1]
	s_mov_b32 s9, s2
	s_waitcnt vmcnt(0)
	v_mov_b64_e32 v[12:13], v[10:11]
.LBB8_57:                               ;   Parent Loop BB8_56 Depth=1
                                        ; =>  This Inner Loop Header: Depth=2
	global_load_dwordx2 v[18:19], v[16:17], off
	v_mov_b32_e32 v7, s9
	s_add_i32 s9, s9, 1
	v_cmp_eq_u32_e32 vcc, s9, v14
	s_or_b64 s[6:7], vcc, s[6:7]
	v_lshl_add_u64 v[16:17], v[16:17], 0, 8
	s_waitcnt vmcnt(0)
	v_cmp_lt_f64_e32 vcc, v[18:19], v[12:13]
	s_nop 1
	v_cndmask_b32_e32 v13, v13, v19, vcc
	v_cndmask_b32_e32 v12, v12, v18, vcc
	;; [unrolled: 1-line block ×3, first 2 shown]
	s_andn2_b64 exec, exec, s[6:7]
	s_cbranch_execnz .LBB8_57
; %bb.58:                               ;   in Loop: Header=BB8_56 Depth=1
	s_or_b64 exec, exec, s[6:7]
	v_cmp_ne_u32_e32 vcc, s8, v6
	s_and_saveexec_b64 s[6:7], vcc
	s_cbranch_execz .LBB8_55
; %bb.59:                               ;   in Loop: Header=BB8_56 Depth=1
	v_ashrrev_i32_e32 v7, 31, v6
	v_lshl_add_u64 v[16:17], v[6:7], 3, v[2:3]
	s_and_b64 vcc, exec, s[0:1]
	global_store_dwordx2 v[16:17], v[10:11], off
	global_store_dwordx2 v[8:9], v[12:13], off offset:-8
	s_cbranch_vccnz .LBB8_55
; %bb.60:                               ;   in Loop: Header=BB8_56 Depth=1
	v_lshl_add_u64 v[8:9], s[2:3], 2, v[4:5]
	v_lshl_add_u64 v[6:7], v[6:7], 2, v[4:5]
	global_load_dword v10, v[8:9], off offset:-4
	global_load_dword v11, v[6:7], off
	s_waitcnt vmcnt(1)
	global_store_dword v[6:7], v10, off
	s_waitcnt vmcnt(1)
	global_store_dword v[8:9], v11, off offset:-4
	s_branch .LBB8_55
.LBB8_61:
	s_endpgm
	.section	.rodata,"a",@progbits
	.p2align	6, 0x0
	.amdhsa_kernel _ZN9rocsolver6v33100L22stebz_synthesis_kernelIdPdEEv15rocblas_erange_15rocblas_eorder_iiiT0_iiPiS6_PT_lS6_lS6_liS6_S8_S8_S8_S8_S6_S7_
		.amdhsa_group_segment_fixed_size 0
		.amdhsa_private_segment_fixed_size 0
		.amdhsa_kernarg_size 424
		.amdhsa_user_sgpr_count 2
		.amdhsa_user_sgpr_dispatch_ptr 0
		.amdhsa_user_sgpr_queue_ptr 0
		.amdhsa_user_sgpr_kernarg_segment_ptr 1
		.amdhsa_user_sgpr_dispatch_id 0
		.amdhsa_user_sgpr_kernarg_preload_length 0
		.amdhsa_user_sgpr_kernarg_preload_offset 0
		.amdhsa_user_sgpr_private_segment_size 0
		.amdhsa_uses_dynamic_stack 0
		.amdhsa_enable_private_segment 0
		.amdhsa_system_sgpr_workgroup_id_x 1
		.amdhsa_system_sgpr_workgroup_id_y 0
		.amdhsa_system_sgpr_workgroup_id_z 0
		.amdhsa_system_sgpr_workgroup_info 0
		.amdhsa_system_vgpr_workitem_id 0
		.amdhsa_next_free_vgpr 50
		.amdhsa_next_free_sgpr 34
		.amdhsa_accum_offset 52
		.amdhsa_reserve_vcc 1
		.amdhsa_float_round_mode_32 0
		.amdhsa_float_round_mode_16_64 0
		.amdhsa_float_denorm_mode_32 3
		.amdhsa_float_denorm_mode_16_64 3
		.amdhsa_dx10_clamp 1
		.amdhsa_ieee_mode 1
		.amdhsa_fp16_overflow 0
		.amdhsa_tg_split 0
		.amdhsa_exception_fp_ieee_invalid_op 0
		.amdhsa_exception_fp_denorm_src 0
		.amdhsa_exception_fp_ieee_div_zero 0
		.amdhsa_exception_fp_ieee_overflow 0
		.amdhsa_exception_fp_ieee_underflow 0
		.amdhsa_exception_fp_ieee_inexact 0
		.amdhsa_exception_int_div_zero 0
	.end_amdhsa_kernel
	.section	.text._ZN9rocsolver6v33100L22stebz_synthesis_kernelIdPdEEv15rocblas_erange_15rocblas_eorder_iiiT0_iiPiS6_PT_lS6_lS6_liS6_S8_S8_S8_S8_S6_S7_,"axG",@progbits,_ZN9rocsolver6v33100L22stebz_synthesis_kernelIdPdEEv15rocblas_erange_15rocblas_eorder_iiiT0_iiPiS6_PT_lS6_lS6_liS6_S8_S8_S8_S8_S6_S7_,comdat
.Lfunc_end8:
	.size	_ZN9rocsolver6v33100L22stebz_synthesis_kernelIdPdEEv15rocblas_erange_15rocblas_eorder_iiiT0_iiPiS6_PT_lS6_lS6_liS6_S8_S8_S8_S8_S6_S7_, .Lfunc_end8-_ZN9rocsolver6v33100L22stebz_synthesis_kernelIdPdEEv15rocblas_erange_15rocblas_eorder_iiiT0_iiPiS6_PT_lS6_lS6_liS6_S8_S8_S8_S8_S6_S7_
                                        ; -- End function
	.set _ZN9rocsolver6v33100L22stebz_synthesis_kernelIdPdEEv15rocblas_erange_15rocblas_eorder_iiiT0_iiPiS6_PT_lS6_lS6_liS6_S8_S8_S8_S8_S6_S7_.num_vgpr, 50
	.set _ZN9rocsolver6v33100L22stebz_synthesis_kernelIdPdEEv15rocblas_erange_15rocblas_eorder_iiiT0_iiPiS6_PT_lS6_lS6_liS6_S8_S8_S8_S8_S6_S7_.num_agpr, 0
	.set _ZN9rocsolver6v33100L22stebz_synthesis_kernelIdPdEEv15rocblas_erange_15rocblas_eorder_iiiT0_iiPiS6_PT_lS6_lS6_liS6_S8_S8_S8_S8_S6_S7_.numbered_sgpr, 34
	.set _ZN9rocsolver6v33100L22stebz_synthesis_kernelIdPdEEv15rocblas_erange_15rocblas_eorder_iiiT0_iiPiS6_PT_lS6_lS6_liS6_S8_S8_S8_S8_S6_S7_.num_named_barrier, 0
	.set _ZN9rocsolver6v33100L22stebz_synthesis_kernelIdPdEEv15rocblas_erange_15rocblas_eorder_iiiT0_iiPiS6_PT_lS6_lS6_liS6_S8_S8_S8_S8_S6_S7_.private_seg_size, 0
	.set _ZN9rocsolver6v33100L22stebz_synthesis_kernelIdPdEEv15rocblas_erange_15rocblas_eorder_iiiT0_iiPiS6_PT_lS6_lS6_liS6_S8_S8_S8_S8_S6_S7_.uses_vcc, 1
	.set _ZN9rocsolver6v33100L22stebz_synthesis_kernelIdPdEEv15rocblas_erange_15rocblas_eorder_iiiT0_iiPiS6_PT_lS6_lS6_liS6_S8_S8_S8_S8_S6_S7_.uses_flat_scratch, 0
	.set _ZN9rocsolver6v33100L22stebz_synthesis_kernelIdPdEEv15rocblas_erange_15rocblas_eorder_iiiT0_iiPiS6_PT_lS6_lS6_liS6_S8_S8_S8_S8_S6_S7_.has_dyn_sized_stack, 0
	.set _ZN9rocsolver6v33100L22stebz_synthesis_kernelIdPdEEv15rocblas_erange_15rocblas_eorder_iiiT0_iiPiS6_PT_lS6_lS6_liS6_S8_S8_S8_S8_S6_S7_.has_recursion, 0
	.set _ZN9rocsolver6v33100L22stebz_synthesis_kernelIdPdEEv15rocblas_erange_15rocblas_eorder_iiiT0_iiPiS6_PT_lS6_lS6_liS6_S8_S8_S8_S8_S6_S7_.has_indirect_call, 0
	.section	.AMDGPU.csdata,"",@progbits
; Kernel info:
; codeLenInByte = 2572
; TotalNumSgprs: 40
; NumVgprs: 50
; NumAgprs: 0
; TotalNumVgprs: 50
; ScratchSize: 0
; MemoryBound: 0
; FloatMode: 240
; IeeeMode: 1
; LDSByteSize: 0 bytes/workgroup (compile time only)
; SGPRBlocks: 4
; VGPRBlocks: 6
; NumSGPRsForWavesPerEU: 40
; NumVGPRsForWavesPerEU: 50
; AccumOffset: 52
; Occupancy: 8
; WaveLimiterHint : 1
; COMPUTE_PGM_RSRC2:SCRATCH_EN: 0
; COMPUTE_PGM_RSRC2:USER_SGPR: 2
; COMPUTE_PGM_RSRC2:TRAP_HANDLER: 0
; COMPUTE_PGM_RSRC2:TGID_X_EN: 1
; COMPUTE_PGM_RSRC2:TGID_Y_EN: 0
; COMPUTE_PGM_RSRC2:TGID_Z_EN: 0
; COMPUTE_PGM_RSRC2:TIDIG_COMP_CNT: 0
; COMPUTE_PGM_RSRC3_GFX90A:ACCUM_OFFSET: 12
; COMPUTE_PGM_RSRC3_GFX90A:TG_SPLIT: 0
	.section	.AMDGPU.gpr_maximums,"",@progbits
	.set amdgpu.max_num_vgpr, 0
	.set amdgpu.max_num_agpr, 0
	.set amdgpu.max_num_sgpr, 0
	.section	.AMDGPU.csdata,"",@progbits
	.type	__hip_cuid_5530423b466e9fbb,@object ; @__hip_cuid_5530423b466e9fbb
	.section	.bss,"aw",@nobits
	.globl	__hip_cuid_5530423b466e9fbb
__hip_cuid_5530423b466e9fbb:
	.byte	0                               ; 0x0
	.size	__hip_cuid_5530423b466e9fbb, 1

	.ident	"AMD clang version 22.0.0git (https://github.com/RadeonOpenCompute/llvm-project roc-7.2.4 26084 f58b06dce1f9c15707c5f808fd002e18c2accf7e)"
	.section	".note.GNU-stack","",@progbits
	.addrsig
	.addrsig_sym __hip_cuid_5530423b466e9fbb
	.amdgpu_metadata
---
amdhsa.kernels:
  - .agpr_count:     0
    .args:
      - .address_space:  global
        .offset:         0
        .size:           8
        .value_kind:     global_buffer
      - .offset:         8
        .size:           4
        .value_kind:     by_value
      - .offset:         12
        .size:           4
        .value_kind:     by_value
      - .offset:         16
        .size:           4
        .value_kind:     by_value
      - .offset:         24
        .size:           4
        .value_kind:     hidden_block_count_x
      - .offset:         28
        .size:           4
        .value_kind:     hidden_block_count_y
      - .offset:         32
        .size:           4
        .value_kind:     hidden_block_count_z
      - .offset:         36
        .size:           2
        .value_kind:     hidden_group_size_x
      - .offset:         38
        .size:           2
        .value_kind:     hidden_group_size_y
      - .offset:         40
        .size:           2
        .value_kind:     hidden_group_size_z
      - .offset:         42
        .size:           2
        .value_kind:     hidden_remainder_x
      - .offset:         44
        .size:           2
        .value_kind:     hidden_remainder_y
      - .offset:         46
        .size:           2
        .value_kind:     hidden_remainder_z
      - .offset:         64
        .size:           8
        .value_kind:     hidden_global_offset_x
      - .offset:         72
        .size:           8
        .value_kind:     hidden_global_offset_y
      - .offset:         80
        .size:           8
        .value_kind:     hidden_global_offset_z
      - .offset:         88
        .size:           2
        .value_kind:     hidden_grid_dims
    .group_segment_fixed_size: 0
    .kernarg_segment_align: 8
    .kernarg_segment_size: 280
    .language:       OpenCL C
    .language_version:
      - 2
      - 0
    .max_flat_workgroup_size: 1024
    .name:           _ZN9rocsolver6v33100L10reset_infoIiiiEEvPT_T0_T1_S4_
    .private_segment_fixed_size: 0
    .sgpr_count:     14
    .sgpr_spill_count: 0
    .symbol:         _ZN9rocsolver6v33100L10reset_infoIiiiEEvPT_T0_T1_S4_.kd
    .uniform_work_group_size: 1
    .uses_dynamic_stack: false
    .vgpr_count:     3
    .vgpr_spill_count: 0
    .wavefront_size: 64
  - .agpr_count:     0
    .args:
      - .offset:         0
        .size:           4
        .value_kind:     by_value
      - .offset:         4
        .size:           4
        .value_kind:     by_value
      - .offset:         8
        .size:           4
        .value_kind:     by_value
      - .address_space:  global
        .offset:         16
        .size:           8
        .value_kind:     global_buffer
      - .offset:         24
        .size:           4
        .value_kind:     by_value
      - .offset:         32
        .size:           8
        .value_kind:     by_value
      - .address_space:  global
        .offset:         40
        .size:           8
        .value_kind:     global_buffer
      - .address_space:  global
        .offset:         48
        .size:           8
        .value_kind:     global_buffer
      - .address_space:  global
        .offset:         56
        .size:           8
        .value_kind:     global_buffer
      - .offset:         64
        .size:           8
        .value_kind:     by_value
      - .address_space:  global
        .offset:         72
        .size:           8
        .value_kind:     global_buffer
      - .offset:         80
        .size:           8
        .value_kind:     by_value
      - .address_space:  global
        .offset:         88
        .size:           8
        .value_kind:     global_buffer
      - .offset:         96
        .size:           8
        .value_kind:     by_value
      - .offset:         104
        .size:           4
        .value_kind:     by_value
      - .offset:         112
        .size:           4
        .value_kind:     hidden_block_count_x
      - .offset:         116
        .size:           4
        .value_kind:     hidden_block_count_y
      - .offset:         120
        .size:           4
        .value_kind:     hidden_block_count_z
      - .offset:         124
        .size:           2
        .value_kind:     hidden_group_size_x
      - .offset:         126
        .size:           2
        .value_kind:     hidden_group_size_y
      - .offset:         128
        .size:           2
        .value_kind:     hidden_group_size_z
      - .offset:         130
        .size:           2
        .value_kind:     hidden_remainder_x
      - .offset:         132
        .size:           2
        .value_kind:     hidden_remainder_y
      - .offset:         134
        .size:           2
        .value_kind:     hidden_remainder_z
      - .offset:         152
        .size:           8
        .value_kind:     hidden_global_offset_x
      - .offset:         160
        .size:           8
        .value_kind:     hidden_global_offset_y
      - .offset:         168
        .size:           8
        .value_kind:     hidden_global_offset_z
      - .offset:         176
        .size:           2
        .value_kind:     hidden_grid_dims
    .group_segment_fixed_size: 0
    .kernarg_segment_align: 8
    .kernarg_segment_size: 368
    .language:       OpenCL C
    .language_version:
      - 2
      - 0
    .max_flat_workgroup_size: 1024
    .name:           _ZN9rocsolver6v33100L18stebz_case1_kernelIfPfEEv15rocblas_erange_T_S4_T0_ilPiS6_PS4_lS6_lS6_li
    .private_segment_fixed_size: 0
    .sgpr_count:     30
    .sgpr_spill_count: 0
    .symbol:         _ZN9rocsolver6v33100L18stebz_case1_kernelIfPfEEv15rocblas_erange_T_S4_T0_ilPiS6_PS4_lS6_lS6_li.kd
    .uniform_work_group_size: 1
    .uses_dynamic_stack: false
    .vgpr_count:     13
    .vgpr_spill_count: 0
    .wavefront_size: 64
  - .agpr_count:     0
    .args:
      - .offset:         0
        .size:           4
        .value_kind:     by_value
      - .offset:         4
        .size:           4
        .value_kind:     by_value
      - .offset:         8
        .size:           4
        .value_kind:     by_value
      - .offset:         12
        .size:           4
        .value_kind:     by_value
      - .offset:         16
        .size:           4
        .value_kind:     by_value
      - .offset:         20
        .size:           4
        .value_kind:     by_value
      - .address_space:  global
        .offset:         24
        .size:           8
        .value_kind:     global_buffer
      - .offset:         32
        .size:           4
        .value_kind:     by_value
      - .offset:         36
        .size:           4
        .value_kind:     by_value
      - .address_space:  global
        .offset:         40
        .size:           8
        .value_kind:     global_buffer
      - .offset:         48
        .size:           4
        .value_kind:     by_value
      - .offset:         52
        .size:           4
        .value_kind:     by_value
      - .address_space:  global
        .offset:         56
        .size:           8
        .value_kind:     global_buffer
      - .address_space:  global
        .offset:         64
        .size:           8
        .value_kind:     global_buffer
      - .offset:         72
        .size:           8
        .value_kind:     by_value
      - .address_space:  global
        .offset:         80
        .size:           8
        .value_kind:     global_buffer
      - .offset:         88
        .size:           8
        .value_kind:     by_value
      - .address_space:  global
        .offset:         96
        .size:           8
        .value_kind:     global_buffer
      - .address_space:  global
        .offset:         104
        .size:           8
        .value_kind:     global_buffer
      - .address_space:  global
        .offset:         112
        .size:           8
        .value_kind:     global_buffer
      - .address_space:  global
        .offset:         120
        .size:           8
        .value_kind:     global_buffer
      - .address_space:  global
        .offset:         128
        .size:           8
        .value_kind:     global_buffer
      - .address_space:  global
        .offset:         136
        .size:           8
        .value_kind:     global_buffer
      - .offset:         144
        .size:           4
        .value_kind:     by_value
      - .offset:         148
        .size:           4
        .value_kind:     by_value
    .group_segment_fixed_size: 2048
    .kernarg_segment_align: 8
    .kernarg_segment_size: 152
    .language:       OpenCL C
    .language_version:
      - 2
      - 0
    .max_flat_workgroup_size: 256
    .name:           _ZN9rocsolver6v33100L22stebz_splitting_kernelIfPfEEv15rocblas_erange_iT_S4_iiT0_iiS5_iiPiPS4_lS6_lS6_S7_S7_S7_S7_S6_S4_S4_
    .private_segment_fixed_size: 0
    .sgpr_count:     62
    .sgpr_spill_count: 0
    .symbol:         _ZN9rocsolver6v33100L22stebz_splitting_kernelIfPfEEv15rocblas_erange_iT_S4_iiT0_iiS5_iiPiPS4_lS6_lS6_S7_S7_S7_S7_S6_S4_S4_.kd
    .uniform_work_group_size: 1
    .uses_dynamic_stack: false
    .vgpr_count:     44
    .vgpr_spill_count: 0
    .wavefront_size: 64
  - .agpr_count:     0
    .args:
      - .offset:         0
        .size:           4
        .value_kind:     by_value
      - .offset:         4
        .size:           4
        .value_kind:     by_value
      - .offset:         8
        .size:           4
        .value_kind:     by_value
      - .address_space:  global
        .offset:         16
        .size:           8
        .value_kind:     global_buffer
      - .offset:         24
        .size:           4
        .value_kind:     by_value
      - .offset:         28
        .size:           4
        .value_kind:     by_value
      - .address_space:  global
        .offset:         32
        .size:           8
        .value_kind:     global_buffer
      - .offset:         40
        .size:           4
        .value_kind:     by_value
      - .offset:         44
        .size:           4
        .value_kind:     by_value
      - .address_space:  global
        .offset:         48
        .size:           8
        .value_kind:     global_buffer
      - .address_space:  global
        .offset:         56
        .size:           8
        .value_kind:     global_buffer
      - .offset:         64
        .size:           8
        .value_kind:     by_value
      - .address_space:  global
        .offset:         72
        .size:           8
        .value_kind:     global_buffer
      - .offset:         80
        .size:           8
        .value_kind:     by_value
      - .address_space:  global
        .offset:         88
        .size:           8
        .value_kind:     global_buffer
      - .offset:         96
        .size:           8
        .value_kind:     by_value
      - .address_space:  global
        .offset:         104
        .size:           8
        .value_kind:     global_buffer
      - .address_space:  global
        .offset:         112
        .size:           8
        .value_kind:     global_buffer
      - .address_space:  global
        .offset:         120
        .size:           8
        .value_kind:     global_buffer
      - .address_space:  global
        .offset:         128
        .size:           8
        .value_kind:     global_buffer
      - .address_space:  global
        .offset:         136
        .size:           8
        .value_kind:     global_buffer
      - .address_space:  global
        .offset:         144
        .size:           8
        .value_kind:     global_buffer
      - .address_space:  global
        .offset:         152
        .size:           8
        .value_kind:     global_buffer
      - .offset:         160
        .size:           4
        .value_kind:     by_value
      - .offset:         164
        .size:           4
        .value_kind:     by_value
    .group_segment_fixed_size: 4616
    .kernarg_segment_align: 8
    .kernarg_segment_size: 168
    .language:       OpenCL C
    .language_version:
      - 2
      - 0
    .max_flat_workgroup_size: 128
    .name:           _ZN9rocsolver6v33100L22stebz_bisection_kernelIfPfEEv15rocblas_erange_iT_T0_iiS5_iiPiPS4_lS6_lS6_lS6_S6_S7_S7_S7_S7_S6_S4_S4_
    .private_segment_fixed_size: 0
    .sgpr_count:     96
    .sgpr_spill_count: 0
    .symbol:         _ZN9rocsolver6v33100L22stebz_bisection_kernelIfPfEEv15rocblas_erange_iT_T0_iiS5_iiPiPS4_lS6_lS6_lS6_S6_S7_S7_S7_S7_S6_S4_S4_.kd
    .uniform_work_group_size: 1
    .uses_dynamic_stack: false
    .vgpr_count:     28
    .vgpr_spill_count: 0
    .wavefront_size: 64
  - .agpr_count:     0
    .args:
      - .offset:         0
        .size:           4
        .value_kind:     by_value
      - .offset:         4
        .size:           4
        .value_kind:     by_value
      - .offset:         8
        .size:           4
        .value_kind:     by_value
      - .offset:         12
        .size:           4
        .value_kind:     by_value
      - .offset:         16
        .size:           4
        .value_kind:     by_value
      - .address_space:  global
        .offset:         24
        .size:           8
        .value_kind:     global_buffer
      - .offset:         32
        .size:           4
        .value_kind:     by_value
      - .offset:         36
        .size:           4
        .value_kind:     by_value
      - .address_space:  global
        .offset:         40
        .size:           8
        .value_kind:     global_buffer
      - .address_space:  global
        .offset:         48
        .size:           8
        .value_kind:     global_buffer
      - .address_space:  global
        .offset:         56
        .size:           8
        .value_kind:     global_buffer
      - .offset:         64
        .size:           8
        .value_kind:     by_value
      - .address_space:  global
        .offset:         72
        .size:           8
        .value_kind:     global_buffer
      - .offset:         80
        .size:           8
        .value_kind:     by_value
      - .address_space:  global
        .offset:         88
        .size:           8
        .value_kind:     global_buffer
      - .offset:         96
        .size:           8
        .value_kind:     by_value
      - .offset:         104
        .size:           4
        .value_kind:     by_value
      - .address_space:  global
        .offset:         112
        .size:           8
        .value_kind:     global_buffer
      - .address_space:  global
        .offset:         120
        .size:           8
        .value_kind:     global_buffer
      - .address_space:  global
        .offset:         128
        .size:           8
        .value_kind:     global_buffer
      - .address_space:  global
        .offset:         136
        .size:           8
        .value_kind:     global_buffer
      - .address_space:  global
        .offset:         144
        .size:           8
        .value_kind:     global_buffer
      - .address_space:  global
        .offset:         152
        .size:           8
        .value_kind:     global_buffer
      - .offset:         160
        .size:           4
        .value_kind:     by_value
      - .offset:         168
        .size:           4
        .value_kind:     hidden_block_count_x
      - .offset:         172
        .size:           4
        .value_kind:     hidden_block_count_y
      - .offset:         176
        .size:           4
        .value_kind:     hidden_block_count_z
      - .offset:         180
        .size:           2
        .value_kind:     hidden_group_size_x
      - .offset:         182
        .size:           2
        .value_kind:     hidden_group_size_y
      - .offset:         184
        .size:           2
        .value_kind:     hidden_group_size_z
      - .offset:         186
        .size:           2
        .value_kind:     hidden_remainder_x
      - .offset:         188
        .size:           2
        .value_kind:     hidden_remainder_y
      - .offset:         190
        .size:           2
        .value_kind:     hidden_remainder_z
      - .offset:         208
        .size:           8
        .value_kind:     hidden_global_offset_x
      - .offset:         216
        .size:           8
        .value_kind:     hidden_global_offset_y
      - .offset:         224
        .size:           8
        .value_kind:     hidden_global_offset_z
      - .offset:         232
        .size:           2
        .value_kind:     hidden_grid_dims
    .group_segment_fixed_size: 0
    .kernarg_segment_align: 8
    .kernarg_segment_size: 424
    .language:       OpenCL C
    .language_version:
      - 2
      - 0
    .max_flat_workgroup_size: 1024
    .name:           _ZN9rocsolver6v33100L22stebz_synthesis_kernelIfPfEEv15rocblas_erange_15rocblas_eorder_iiiT0_iiPiS6_PT_lS6_lS6_liS6_S8_S8_S8_S8_S6_S7_
    .private_segment_fixed_size: 0
    .sgpr_count:     42
    .sgpr_spill_count: 0
    .symbol:         _ZN9rocsolver6v33100L22stebz_synthesis_kernelIfPfEEv15rocblas_erange_15rocblas_eorder_iiiT0_iiPiS6_PT_lS6_lS6_liS6_S8_S8_S8_S8_S6_S7_.kd
    .uniform_work_group_size: 1
    .uses_dynamic_stack: false
    .vgpr_count:     43
    .vgpr_spill_count: 0
    .wavefront_size: 64
  - .agpr_count:     0
    .args:
      - .offset:         0
        .size:           4
        .value_kind:     by_value
      - .offset:         8
        .size:           8
        .value_kind:     by_value
      - .offset:         16
        .size:           8
        .value_kind:     by_value
      - .address_space:  global
        .offset:         24
        .size:           8
        .value_kind:     global_buffer
      - .offset:         32
        .size:           4
        .value_kind:     by_value
      - .offset:         40
        .size:           8
        .value_kind:     by_value
      - .address_space:  global
        .offset:         48
        .size:           8
        .value_kind:     global_buffer
      - .address_space:  global
        .offset:         56
        .size:           8
        .value_kind:     global_buffer
      - .address_space:  global
        .offset:         64
        .size:           8
        .value_kind:     global_buffer
      - .offset:         72
        .size:           8
        .value_kind:     by_value
      - .address_space:  global
        .offset:         80
        .size:           8
        .value_kind:     global_buffer
      - .offset:         88
        .size:           8
        .value_kind:     by_value
      - .address_space:  global
        .offset:         96
        .size:           8
        .value_kind:     global_buffer
      - .offset:         104
        .size:           8
        .value_kind:     by_value
      - .offset:         112
        .size:           4
        .value_kind:     by_value
      - .offset:         120
        .size:           4
        .value_kind:     hidden_block_count_x
      - .offset:         124
        .size:           4
        .value_kind:     hidden_block_count_y
      - .offset:         128
        .size:           4
        .value_kind:     hidden_block_count_z
      - .offset:         132
        .size:           2
        .value_kind:     hidden_group_size_x
      - .offset:         134
        .size:           2
        .value_kind:     hidden_group_size_y
      - .offset:         136
        .size:           2
        .value_kind:     hidden_group_size_z
      - .offset:         138
        .size:           2
        .value_kind:     hidden_remainder_x
      - .offset:         140
        .size:           2
        .value_kind:     hidden_remainder_y
      - .offset:         142
        .size:           2
        .value_kind:     hidden_remainder_z
      - .offset:         160
        .size:           8
        .value_kind:     hidden_global_offset_x
      - .offset:         168
        .size:           8
        .value_kind:     hidden_global_offset_y
      - .offset:         176
        .size:           8
        .value_kind:     hidden_global_offset_z
      - .offset:         184
        .size:           2
        .value_kind:     hidden_grid_dims
    .group_segment_fixed_size: 0
    .kernarg_segment_align: 8
    .kernarg_segment_size: 376
    .language:       OpenCL C
    .language_version:
      - 2
      - 0
    .max_flat_workgroup_size: 1024
    .name:           _ZN9rocsolver6v33100L18stebz_case1_kernelIdPdEEv15rocblas_erange_T_S4_T0_ilPiS6_PS4_lS6_lS6_li
    .private_segment_fixed_size: 0
    .sgpr_count:     30
    .sgpr_spill_count: 0
    .symbol:         _ZN9rocsolver6v33100L18stebz_case1_kernelIdPdEEv15rocblas_erange_T_S4_T0_ilPiS6_PS4_lS6_lS6_li.kd
    .uniform_work_group_size: 1
    .uses_dynamic_stack: false
    .vgpr_count:     14
    .vgpr_spill_count: 0
    .wavefront_size: 64
  - .agpr_count:     0
    .args:
      - .offset:         0
        .size:           4
        .value_kind:     by_value
      - .offset:         4
        .size:           4
        .value_kind:     by_value
      - .offset:         8
        .size:           8
        .value_kind:     by_value
      - .offset:         16
        .size:           8
        .value_kind:     by_value
      - .offset:         24
        .size:           4
        .value_kind:     by_value
      - .offset:         28
        .size:           4
        .value_kind:     by_value
      - .address_space:  global
        .offset:         32
        .size:           8
        .value_kind:     global_buffer
      - .offset:         40
        .size:           4
        .value_kind:     by_value
      - .offset:         44
        .size:           4
        .value_kind:     by_value
      - .address_space:  global
        .offset:         48
        .size:           8
        .value_kind:     global_buffer
      - .offset:         56
        .size:           4
        .value_kind:     by_value
      - .offset:         60
        .size:           4
        .value_kind:     by_value
      - .address_space:  global
        .offset:         64
        .size:           8
        .value_kind:     global_buffer
      - .address_space:  global
        .offset:         72
        .size:           8
        .value_kind:     global_buffer
      - .offset:         80
        .size:           8
        .value_kind:     by_value
      - .address_space:  global
        .offset:         88
        .size:           8
        .value_kind:     global_buffer
      - .offset:         96
        .size:           8
        .value_kind:     by_value
      - .address_space:  global
        .offset:         104
        .size:           8
        .value_kind:     global_buffer
      - .address_space:  global
        .offset:         112
        .size:           8
        .value_kind:     global_buffer
      - .address_space:  global
        .offset:         120
        .size:           8
        .value_kind:     global_buffer
      - .address_space:  global
        .offset:         128
        .size:           8
        .value_kind:     global_buffer
      - .address_space:  global
        .offset:         136
        .size:           8
        .value_kind:     global_buffer
      - .address_space:  global
        .offset:         144
        .size:           8
        .value_kind:     global_buffer
      - .offset:         152
        .size:           8
        .value_kind:     by_value
      - .offset:         160
        .size:           8
        .value_kind:     by_value
    .group_segment_fixed_size: 3072
    .kernarg_segment_align: 8
    .kernarg_segment_size: 168
    .language:       OpenCL C
    .language_version:
      - 2
      - 0
    .max_flat_workgroup_size: 256
    .name:           _ZN9rocsolver6v33100L22stebz_splitting_kernelIdPdEEv15rocblas_erange_iT_S4_iiT0_iiS5_iiPiPS4_lS6_lS6_S7_S7_S7_S7_S6_S4_S4_
    .private_segment_fixed_size: 0
    .sgpr_count:     64
    .sgpr_spill_count: 0
    .symbol:         _ZN9rocsolver6v33100L22stebz_splitting_kernelIdPdEEv15rocblas_erange_iT_S4_iiT0_iiS5_iiPiPS4_lS6_lS6_S7_S7_S7_S7_S6_S4_S4_.kd
    .uniform_work_group_size: 1
    .uses_dynamic_stack: false
    .vgpr_count:     44
    .vgpr_spill_count: 0
    .wavefront_size: 64
  - .agpr_count:     0
    .args:
      - .offset:         0
        .size:           4
        .value_kind:     by_value
      - .offset:         4
        .size:           4
        .value_kind:     by_value
      - .offset:         8
        .size:           8
        .value_kind:     by_value
      - .address_space:  global
        .offset:         16
        .size:           8
        .value_kind:     global_buffer
      - .offset:         24
        .size:           4
        .value_kind:     by_value
      - .offset:         28
        .size:           4
        .value_kind:     by_value
      - .address_space:  global
        .offset:         32
        .size:           8
        .value_kind:     global_buffer
      - .offset:         40
        .size:           4
        .value_kind:     by_value
      - .offset:         44
        .size:           4
        .value_kind:     by_value
      - .address_space:  global
        .offset:         48
        .size:           8
        .value_kind:     global_buffer
      - .address_space:  global
        .offset:         56
        .size:           8
        .value_kind:     global_buffer
      - .offset:         64
        .size:           8
        .value_kind:     by_value
      - .address_space:  global
        .offset:         72
        .size:           8
        .value_kind:     global_buffer
      - .offset:         80
        .size:           8
        .value_kind:     by_value
      - .address_space:  global
        .offset:         88
        .size:           8
        .value_kind:     global_buffer
      - .offset:         96
        .size:           8
        .value_kind:     by_value
      - .address_space:  global
        .offset:         104
        .size:           8
        .value_kind:     global_buffer
      - .address_space:  global
        .offset:         112
        .size:           8
        .value_kind:     global_buffer
      - .address_space:  global
        .offset:         120
        .size:           8
        .value_kind:     global_buffer
      - .address_space:  global
        .offset:         128
        .size:           8
        .value_kind:     global_buffer
      - .address_space:  global
        .offset:         136
        .size:           8
        .value_kind:     global_buffer
      - .address_space:  global
        .offset:         144
        .size:           8
        .value_kind:     global_buffer
      - .address_space:  global
        .offset:         152
        .size:           8
        .value_kind:     global_buffer
      - .offset:         160
        .size:           8
        .value_kind:     by_value
      - .offset:         168
        .size:           8
        .value_kind:     by_value
    .group_segment_fixed_size: 6664
    .kernarg_segment_align: 8
    .kernarg_segment_size: 176
    .language:       OpenCL C
    .language_version:
      - 2
      - 0
    .max_flat_workgroup_size: 128
    .name:           _ZN9rocsolver6v33100L22stebz_bisection_kernelIdPdEEv15rocblas_erange_iT_T0_iiS5_iiPiPS4_lS6_lS6_lS6_S6_S7_S7_S7_S7_S6_S4_S4_
    .private_segment_fixed_size: 0
    .sgpr_count:     102
    .sgpr_spill_count: 0
    .symbol:         _ZN9rocsolver6v33100L22stebz_bisection_kernelIdPdEEv15rocblas_erange_iT_T0_iiS5_iiPiPS4_lS6_lS6_lS6_S6_S7_S7_S7_S7_S6_S4_S4_.kd
    .uniform_work_group_size: 1
    .uses_dynamic_stack: false
    .vgpr_count:     54
    .vgpr_spill_count: 0
    .wavefront_size: 64
  - .agpr_count:     0
    .args:
      - .offset:         0
        .size:           4
        .value_kind:     by_value
      - .offset:         4
        .size:           4
        .value_kind:     by_value
      - .offset:         8
        .size:           4
        .value_kind:     by_value
      - .offset:         12
        .size:           4
        .value_kind:     by_value
      - .offset:         16
        .size:           4
        .value_kind:     by_value
      - .address_space:  global
        .offset:         24
        .size:           8
        .value_kind:     global_buffer
      - .offset:         32
        .size:           4
        .value_kind:     by_value
      - .offset:         36
        .size:           4
        .value_kind:     by_value
      - .address_space:  global
        .offset:         40
        .size:           8
        .value_kind:     global_buffer
      - .address_space:  global
        .offset:         48
        .size:           8
        .value_kind:     global_buffer
      - .address_space:  global
        .offset:         56
        .size:           8
        .value_kind:     global_buffer
      - .offset:         64
        .size:           8
        .value_kind:     by_value
      - .address_space:  global
        .offset:         72
        .size:           8
        .value_kind:     global_buffer
      - .offset:         80
        .size:           8
        .value_kind:     by_value
      - .address_space:  global
        .offset:         88
        .size:           8
        .value_kind:     global_buffer
      - .offset:         96
        .size:           8
        .value_kind:     by_value
      - .offset:         104
        .size:           4
        .value_kind:     by_value
      - .address_space:  global
        .offset:         112
        .size:           8
        .value_kind:     global_buffer
      - .address_space:  global
        .offset:         120
        .size:           8
        .value_kind:     global_buffer
      - .address_space:  global
        .offset:         128
        .size:           8
        .value_kind:     global_buffer
      - .address_space:  global
        .offset:         136
        .size:           8
        .value_kind:     global_buffer
      - .address_space:  global
        .offset:         144
        .size:           8
        .value_kind:     global_buffer
      - .address_space:  global
        .offset:         152
        .size:           8
        .value_kind:     global_buffer
      - .offset:         160
        .size:           8
        .value_kind:     by_value
      - .offset:         168
        .size:           4
        .value_kind:     hidden_block_count_x
      - .offset:         172
        .size:           4
        .value_kind:     hidden_block_count_y
      - .offset:         176
        .size:           4
        .value_kind:     hidden_block_count_z
      - .offset:         180
        .size:           2
        .value_kind:     hidden_group_size_x
      - .offset:         182
        .size:           2
        .value_kind:     hidden_group_size_y
      - .offset:         184
        .size:           2
        .value_kind:     hidden_group_size_z
      - .offset:         186
        .size:           2
        .value_kind:     hidden_remainder_x
      - .offset:         188
        .size:           2
        .value_kind:     hidden_remainder_y
      - .offset:         190
        .size:           2
        .value_kind:     hidden_remainder_z
      - .offset:         208
        .size:           8
        .value_kind:     hidden_global_offset_x
      - .offset:         216
        .size:           8
        .value_kind:     hidden_global_offset_y
      - .offset:         224
        .size:           8
        .value_kind:     hidden_global_offset_z
      - .offset:         232
        .size:           2
        .value_kind:     hidden_grid_dims
    .group_segment_fixed_size: 0
    .kernarg_segment_align: 8
    .kernarg_segment_size: 424
    .language:       OpenCL C
    .language_version:
      - 2
      - 0
    .max_flat_workgroup_size: 1024
    .name:           _ZN9rocsolver6v33100L22stebz_synthesis_kernelIdPdEEv15rocblas_erange_15rocblas_eorder_iiiT0_iiPiS6_PT_lS6_lS6_liS6_S8_S8_S8_S8_S6_S7_
    .private_segment_fixed_size: 0
    .sgpr_count:     40
    .sgpr_spill_count: 0
    .symbol:         _ZN9rocsolver6v33100L22stebz_synthesis_kernelIdPdEEv15rocblas_erange_15rocblas_eorder_iiiT0_iiPiS6_PT_lS6_lS6_liS6_S8_S8_S8_S8_S6_S7_.kd
    .uniform_work_group_size: 1
    .uses_dynamic_stack: false
    .vgpr_count:     50
    .vgpr_spill_count: 0
    .wavefront_size: 64
amdhsa.target:   amdgcn-amd-amdhsa--gfx950
amdhsa.version:
  - 1
  - 2
...

	.end_amdgpu_metadata
